;; amdgpu-corpus repo=ROCm/rocFFT kind=compiled arch=gfx906 opt=O3
	.text
	.amdgcn_target "amdgcn-amd-amdhsa--gfx906"
	.amdhsa_code_object_version 6
	.protected	bluestein_single_back_len1768_dim1_dp_op_CI_CI ; -- Begin function bluestein_single_back_len1768_dim1_dp_op_CI_CI
	.globl	bluestein_single_back_len1768_dim1_dp_op_CI_CI
	.p2align	8
	.type	bluestein_single_back_len1768_dim1_dp_op_CI_CI,@function
bluestein_single_back_len1768_dim1_dp_op_CI_CI: ; @bluestein_single_back_len1768_dim1_dp_op_CI_CI
; %bb.0:
	s_mov_b64 s[66:67], s[2:3]
	s_mov_b64 s[64:65], s[0:1]
	s_load_dwordx4 s[0:3], s[4:5], 0x28
	v_mul_u32_u24_e32 v1, 0x1e2, v0
	v_add_u32_sdwa v206, s6, v1 dst_sel:DWORD dst_unused:UNUSED_PAD src0_sel:DWORD src1_sel:WORD_1
	v_mov_b32_e32 v207, 0
	s_add_u32 s64, s64, s7
	s_waitcnt lgkmcnt(0)
	v_cmp_gt_u64_e32 vcc, s[0:1], v[206:207]
	s_addc_u32 s65, s65, 0
	s_and_saveexec_b64 s[0:1], vcc
	s_cbranch_execz .LBB0_23
; %bb.1:
	s_load_dwordx2 s[12:13], s[4:5], 0x0
	s_load_dwordx2 s[14:15], s[4:5], 0x38
	s_movk_i32 s0, 0x88
	v_mul_lo_u16_sdwa v1, v1, s0 dst_sel:DWORD dst_unused:UNUSED_PAD src0_sel:WORD_1 src1_sel:DWORD
	v_sub_u16_e32 v255, v0, v1
	s_movk_i32 s0, 0x68
	v_cmp_gt_u16_e32 vcc, s0, v255
	v_lshlrev_b32_e32 v216, 4, v255
	s_and_saveexec_b64 s[6:7], vcc
	s_cbranch_execz .LBB0_3
; %bb.2:
	s_load_dwordx2 s[0:1], s[4:5], 0x18
	v_or_b32_e32 v133, 0x680, v255
	v_lshlrev_b32_e32 v62, 4, v133
	s_waitcnt lgkmcnt(0)
	s_load_dwordx4 s[8:11], s[0:1], 0x0
	s_waitcnt lgkmcnt(0)
	v_mad_u64_u32 v[0:1], s[0:1], s10, v206, 0
	v_mad_u64_u32 v[2:3], s[0:1], s8, v255, 0
	;; [unrolled: 1-line block ×4, first 2 shown]
	v_mov_b32_e32 v1, v4
	v_lshlrev_b64 v[0:1], 4, v[0:1]
	v_mov_b32_e32 v3, v5
	v_mov_b32_e32 v6, s3
	v_lshlrev_b64 v[2:3], 4, v[2:3]
	v_add_co_u32_e64 v24, s[0:1], s2, v0
	v_addc_co_u32_e64 v25, s[0:1], v6, v1, s[0:1]
	v_add_co_u32_e64 v8, s[0:1], v24, v2
	v_addc_co_u32_e64 v9, s[0:1], v25, v3, s[0:1]
	v_mov_b32_e32 v0, s13
	v_add_co_u32_e64 v26, s[0:1], s12, v216
	v_addc_co_u32_e64 v27, s[0:1], 0, v0, s[0:1]
	s_mul_i32 s0, s9, 0x680
	s_mul_hi_u32 s3, s8, 0x680
	s_add_i32 s3, s3, s0
	s_mul_i32 s2, s8, 0x680
	v_mov_b32_e32 v0, s3
	v_add_co_u32_e64 v10, s[0:1], s2, v8
	v_addc_co_u32_e64 v11, s[0:1], v9, v0, s[0:1]
	global_load_dwordx4 v[0:3], v[8:9], off
	global_load_dwordx4 v[4:7], v[10:11], off
	v_mov_b32_e32 v8, s3
	v_add_co_u32_e64 v28, s[0:1], s2, v10
	v_addc_co_u32_e64 v29, s[0:1], v11, v8, s[0:1]
	v_mov_b32_e32 v16, s3
	v_add_co_u32_e64 v30, s[0:1], s2, v28
	v_addc_co_u32_e64 v31, s[0:1], v29, v16, s[0:1]
	s_movk_i32 s0, 0x1000
	v_add_co_u32_e64 v40, s[0:1], s0, v26
	v_addc_co_u32_e64 v41, s[0:1], 0, v27, s[0:1]
	global_load_dwordx4 v[8:11], v216, s[12:13] offset:1664
	global_load_dwordx4 v[12:15], v216, s[12:13] offset:3328
	global_load_dwordx4 v[16:19], v[28:29], off
	global_load_dwordx4 v[20:23], v[30:31], off
	v_mov_b32_e32 v28, s3
	v_add_co_u32_e64 v42, s[0:1], s2, v30
	v_addc_co_u32_e64 v43, s[0:1], v31, v28, s[0:1]
	global_load_dwordx4 v[28:31], v[42:43], off
	global_load_dwordx4 v[32:35], v[40:41], off offset:896
	global_load_dwordx4 v[36:39], v[40:41], off offset:2560
	v_mov_b32_e32 v40, s3
	v_add_co_u32_e64 v60, s[0:1], s2, v42
	v_addc_co_u32_e64 v61, s[0:1], v43, v40, s[0:1]
	s_movk_i32 s0, 0x2000
	v_add_co_u32_e64 v72, s[0:1], s0, v26
	v_addc_co_u32_e64 v73, s[0:1], 0, v27, s[0:1]
	global_load_dwordx4 v[40:43], v[60:61], off
	global_load_dwordx4 v[44:47], v216, s[12:13]
	global_load_dwordx4 v[48:51], v62, s[12:13]
	global_load_dwordx4 v[52:55], v[72:73], off offset:128
	global_load_dwordx4 v[56:59], v[72:73], off offset:1792
	v_mov_b32_e32 v62, s3
	v_add_co_u32_e64 v64, s[0:1], s2, v60
	v_addc_co_u32_e64 v65, s[0:1], v61, v62, s[0:1]
	v_mov_b32_e32 v66, s3
	v_add_co_u32_e64 v74, s[0:1], s2, v64
	v_addc_co_u32_e64 v75, s[0:1], v65, v66, s[0:1]
	global_load_dwordx4 v[60:63], v[64:65], off
	s_nop 0
	global_load_dwordx4 v[64:67], v[74:75], off
	global_load_dwordx4 v[68:71], v[72:73], off offset:3456
	v_mov_b32_e32 v72, s3
	v_add_co_u32_e64 v76, s[0:1], s2, v74
	v_addc_co_u32_e64 v77, s[0:1], v75, v72, s[0:1]
	s_movk_i32 s0, 0x3000
	v_add_co_u32_e64 v88, s[0:1], s0, v26
	v_addc_co_u32_e64 v89, s[0:1], 0, v27, s[0:1]
	v_mov_b32_e32 v78, s3
	v_add_co_u32_e64 v90, s[0:1], s2, v76
	v_addc_co_u32_e64 v91, s[0:1], v77, v78, s[0:1]
	global_load_dwordx4 v[72:75], v[76:77], off
	s_nop 0
	global_load_dwordx4 v[76:79], v[90:91], off
	global_load_dwordx4 v[80:83], v[88:89], off offset:1024
	global_load_dwordx4 v[84:87], v[88:89], off offset:2688
	v_mov_b32_e32 v88, s3
	v_add_co_u32_e64 v92, s[0:1], s2, v90
	v_addc_co_u32_e64 v93, s[0:1], v91, v88, s[0:1]
	s_movk_i32 s0, 0x4000
	v_add_co_u32_e64 v112, s[0:1], s0, v26
	v_addc_co_u32_e64 v113, s[0:1], 0, v27, s[0:1]
	v_mov_b32_e32 v94, s3
	v_add_co_u32_e64 v104, s[0:1], s2, v92
	v_addc_co_u32_e64 v105, s[0:1], v93, v94, s[0:1]
	v_mov_b32_e32 v106, s3
	v_add_co_u32_e64 v114, s[0:1], s2, v104
	v_addc_co_u32_e64 v115, s[0:1], v105, v106, s[0:1]
	global_load_dwordx4 v[88:91], v[92:93], off
	s_nop 0
	global_load_dwordx4 v[92:95], v[104:105], off
	global_load_dwordx4 v[96:99], v[112:113], off offset:256
	global_load_dwordx4 v[100:103], v[112:113], off offset:1920
	s_nop 0
	global_load_dwordx4 v[104:107], v[114:115], off
	global_load_dwordx4 v[108:111], v[112:113], off offset:3584
	v_mov_b32_e32 v112, s3
	v_add_co_u32_e64 v116, s[0:1], s2, v114
	v_addc_co_u32_e64 v117, s[0:1], v115, v112, s[0:1]
	s_movk_i32 s0, 0x5000
	v_add_co_u32_e64 v124, s[0:1], s0, v26
	v_addc_co_u32_e64 v125, s[0:1], 0, v27, s[0:1]
	v_mov_b32_e32 v118, s3
	v_add_co_u32_e64 v128, s[0:1], s2, v116
	v_addc_co_u32_e64 v129, s[0:1], v117, v118, s[0:1]
	v_mad_u64_u32 v[136:137], s[0:1], s8, v133, 0
	global_load_dwordx4 v[112:115], v[116:117], off
	s_nop 0
	global_load_dwordx4 v[116:119], v[128:129], off
	global_load_dwordx4 v[120:123], v[124:125], off offset:1152
	s_nop 0
	global_load_dwordx4 v[124:127], v[124:125], off offset:2816
	v_mov_b32_e32 v130, s3
	v_add_co_u32_e64 v128, s[0:1], s2, v128
	v_mov_b32_e32 v132, v137
	v_addc_co_u32_e64 v129, s[0:1], v129, v130, s[0:1]
	v_mad_u64_u32 v[137:138], s[0:1], s9, v133, v[132:133]
	s_movk_i32 s2, 0x6000
	v_add_co_u32_e64 v26, s[0:1], s2, v26
	v_addc_co_u32_e64 v27, s[0:1], 0, v27, s[0:1]
	global_load_dwordx4 v[132:135], v[26:27], off offset:384
	v_lshlrev_b64 v[26:27], 4, v[136:137]
	global_load_dwordx4 v[128:131], v[128:129], off
	v_add_co_u32_e64 v24, s[0:1], v24, v26
	v_addc_co_u32_e64 v25, s[0:1], v25, v27, s[0:1]
	global_load_dwordx4 v[24:27], v[24:25], off
	s_waitcnt vmcnt(31)
	v_mul_f64 v[138:139], v[6:7], v[10:11]
	v_mul_f64 v[10:11], v[4:5], v[10:11]
	s_waitcnt vmcnt(29)
	v_mul_f64 v[140:141], v[18:19], v[14:15]
	v_mul_f64 v[14:15], v[16:17], v[14:15]
	;; [unrolled: 3-line block ×4, first 2 shown]
	v_mul_f64 v[142:143], v[22:23], v[34:35]
	v_mul_f64 v[34:35], v[20:21], v[34:35]
	s_waitcnt vmcnt(21)
	v_mul_f64 v[146:147], v[42:43], v[54:55]
	v_mul_f64 v[54:55], v[40:41], v[54:55]
	v_fma_f64 v[4:5], v[4:5], v[8:9], v[138:139]
	v_fma_f64 v[6:7], v[6:7], v[8:9], -v[10:11]
	v_fma_f64 v[8:9], v[16:17], v[12:13], v[140:141]
	v_fma_f64 v[10:11], v[18:19], v[12:13], -v[14:15]
	;; [unrolled: 2-line block ×3, first 2 shown]
	s_waitcnt vmcnt(19)
	v_mul_f64 v[28:29], v[62:63], v[58:59]
	v_mul_f64 v[30:31], v[60:61], v[58:59]
	v_fma_f64 v[0:1], v[0:1], v[44:45], v[136:137]
	v_fma_f64 v[2:3], v[2:3], v[44:45], -v[46:47]
	v_fma_f64 v[12:13], v[20:21], v[32:33], v[142:143]
	v_fma_f64 v[14:15], v[22:23], v[32:33], -v[34:35]
	s_waitcnt vmcnt(17)
	v_mul_f64 v[32:33], v[66:67], v[70:71]
	v_mul_f64 v[34:35], v[64:65], v[70:71]
	s_waitcnt vmcnt(14)
	v_mul_f64 v[36:37], v[74:75], v[82:83]
	v_mul_f64 v[38:39], v[72:73], v[82:83]
	v_fma_f64 v[20:21], v[40:41], v[52:53], v[146:147]
	v_fma_f64 v[22:23], v[42:43], v[52:53], -v[54:55]
	v_fma_f64 v[28:29], v[60:61], v[56:57], v[28:29]
	v_fma_f64 v[30:31], v[62:63], v[56:57], -v[30:31]
	ds_write_b128 v216, v[0:3]
	v_fma_f64 v[0:1], v[64:65], v[68:69], v[32:33]
	v_fma_f64 v[2:3], v[66:67], v[68:69], -v[34:35]
	v_fma_f64 v[32:33], v[72:73], v[80:81], v[36:37]
	v_fma_f64 v[34:35], v[74:75], v[80:81], -v[38:39]
	ds_write_b128 v216, v[4:7] offset:1664
	ds_write_b128 v216, v[8:11] offset:3328
	;; [unrolled: 1-line block ×8, first 2 shown]
	s_waitcnt vmcnt(13)
	v_mul_f64 v[0:1], v[78:79], v[86:87]
	v_mul_f64 v[2:3], v[76:77], v[86:87]
	s_waitcnt vmcnt(10)
	v_mul_f64 v[4:5], v[90:91], v[98:99]
	v_mul_f64 v[6:7], v[88:89], v[98:99]
	s_waitcnt vmcnt(9)
	v_mul_f64 v[8:9], v[94:95], v[102:103]
	v_mul_f64 v[10:11], v[92:93], v[102:103]
	s_waitcnt vmcnt(7)
	v_mul_f64 v[12:13], v[106:107], v[110:111]
	v_mul_f64 v[14:15], v[104:105], v[110:111]
	v_fma_f64 v[0:1], v[76:77], v[84:85], v[0:1]
	v_fma_f64 v[2:3], v[78:79], v[84:85], -v[2:3]
	v_fma_f64 v[4:5], v[88:89], v[96:97], v[4:5]
	v_fma_f64 v[6:7], v[90:91], v[96:97], -v[6:7]
	;; [unrolled: 2-line block ×4, first 2 shown]
	s_waitcnt vmcnt(4)
	v_mul_f64 v[16:17], v[114:115], v[122:123]
	v_mul_f64 v[18:19], v[112:113], v[122:123]
	s_waitcnt vmcnt(3)
	v_mul_f64 v[20:21], v[118:119], v[126:127]
	v_mul_f64 v[22:23], v[116:117], v[126:127]
	v_fma_f64 v[16:17], v[112:113], v[120:121], v[16:17]
	v_fma_f64 v[18:19], v[114:115], v[120:121], -v[18:19]
	v_fma_f64 v[20:21], v[116:117], v[124:125], v[20:21]
	v_fma_f64 v[22:23], v[118:119], v[124:125], -v[22:23]
	s_waitcnt vmcnt(1)
	v_mul_f64 v[28:29], v[130:131], v[134:135]
	v_mul_f64 v[30:31], v[128:129], v[134:135]
	s_waitcnt vmcnt(0)
	v_mul_f64 v[32:33], v[26:27], v[50:51]
	v_mul_f64 v[34:35], v[24:25], v[50:51]
	v_fma_f64 v[28:29], v[128:129], v[132:133], v[28:29]
	v_fma_f64 v[30:31], v[130:131], v[132:133], -v[30:31]
	v_fma_f64 v[24:25], v[24:25], v[48:49], v[32:33]
	v_fma_f64 v[26:27], v[26:27], v[48:49], -v[34:35]
	ds_write_b128 v216, v[0:3] offset:14976
	ds_write_b128 v216, v[4:7] offset:16640
	;; [unrolled: 1-line block ×8, first 2 shown]
.LBB0_3:
	s_or_b64 exec, exec, s[6:7]
	s_load_dwordx2 s[0:1], s[4:5], 0x20
	s_load_dwordx2 s[8:9], s[4:5], 0x8
	s_waitcnt lgkmcnt(0)
	s_barrier
	s_waitcnt lgkmcnt(0)
                                        ; implicit-def: $vgpr4_vgpr5
                                        ; implicit-def: $vgpr64_vgpr65
                                        ; implicit-def: $vgpr52_vgpr53
                                        ; implicit-def: $vgpr8_vgpr9
                                        ; implicit-def: $vgpr12_vgpr13
                                        ; implicit-def: $vgpr16_vgpr17
                                        ; implicit-def: $vgpr28_vgpr29
                                        ; implicit-def: $vgpr40_vgpr41
                                        ; implicit-def: $vgpr48_vgpr49
                                        ; implicit-def: $vgpr44_vgpr45
                                        ; implicit-def: $vgpr36_vgpr37
                                        ; implicit-def: $vgpr32_vgpr33
                                        ; implicit-def: $vgpr24_vgpr25
                                        ; implicit-def: $vgpr20_vgpr21
                                        ; implicit-def: $vgpr56_vgpr57
                                        ; implicit-def: $vgpr60_vgpr61
                                        ; implicit-def: $vgpr68_vgpr69
	s_and_saveexec_b64 s[2:3], vcc
	s_cbranch_execz .LBB0_5
; %bb.4:
	ds_read_b128 v[4:7], v216
	ds_read_b128 v[68:71], v216 offset:1664
	ds_read_b128 v[64:67], v216 offset:3328
	;; [unrolled: 1-line block ×16, first 2 shown]
.LBB0_5:
	s_or_b64 exec, exec, s[2:3]
	s_waitcnt lgkmcnt(5)
	v_add_f64 v[221:222], v[20:21], -v[32:33]
	s_mov_b32 s40, 0x6c9a05f6
	s_mov_b32 s41, 0xbfe9895b
	s_waitcnt lgkmcnt(0)
	v_add_f64 v[134:135], v[70:71], -v[50:51]
	s_mov_b32 s16, 0x5d8e7cdc
	s_mov_b32 s17, 0xbfd71e95
	v_add_f64 v[124:125], v[68:69], -v[48:49]
	v_add_f64 v[98:99], v[48:49], v[68:69]
	v_mul_f64 v[76:77], v[221:222], s[40:41]
	v_add_f64 v[152:153], v[66:67], -v[42:43]
	s_mov_b32 s2, 0x370991
	v_mul_f64 v[166:167], v[134:135], s[16:17]
	s_mov_b32 s20, 0x2a9d6da3
	s_mov_b32 s3, 0x3fedd6d0
	;; [unrolled: 1-line block ×3, first 2 shown]
	v_add_f64 v[100:101], v[50:51], v[70:71]
	buffer_store_dword v76, off, s[64:67], 0 offset:16 ; 4-byte Folded Spill
	s_nop 0
	buffer_store_dword v77, off, s[64:67], 0 offset:20 ; 4-byte Folded Spill
	v_mul_f64 v[172:173], v[124:125], s[16:17]
	v_add_f64 v[120:121], v[64:65], v[40:41]
	v_fma_f64 v[0:1], v[98:99], s[2:3], v[166:167]
	v_mul_f64 v[174:175], v[152:153], s[20:21]
	v_add_f64 v[150:151], v[64:65], -v[40:41]
	s_mov_b32 s4, 0x75d4884
	s_mov_b32 s5, 0x3fe7a5f6
	v_add_f64 v[130:131], v[66:67], v[42:43]
	v_fma_f64 v[2:3], v[100:101], s[2:3], -v[172:173]
	v_add_f64 v[164:165], v[60:61], -v[44:45]
	v_add_f64 v[0:1], v[4:5], v[0:1]
	v_fma_f64 v[72:73], v[120:121], s[4:5], v[174:175]
	v_mul_f64 v[186:187], v[150:151], s[20:21]
	s_mov_b32 s24, 0x7c9e640b
	s_mov_b32 s25, 0xbfeca52d
	v_add_f64 v[142:143], v[46:47], v[62:63]
	v_add_f64 v[2:3], v[6:7], v[2:3]
	v_mul_f64 v[196:197], v[164:165], s[24:25]
	v_add_f64 v[182:183], v[56:57], -v[28:29]
	v_add_f64 v[0:1], v[72:73], v[0:1]
	v_fma_f64 v[72:73], v[130:131], s[4:5], -v[186:187]
	s_mov_b32 s6, 0x2b2883cd
	s_mov_b32 s28, 0xeb564b22
	;; [unrolled: 1-line block ×4, first 2 shown]
	v_add_f64 v[140:141], v[30:31], v[58:59]
	v_mul_f64 v[198:199], v[182:183], s[28:29]
	v_add_f64 v[204:205], v[52:53], -v[36:37]
	v_add_f64 v[2:3], v[72:73], v[2:3]
	v_fma_f64 v[72:73], v[142:143], s[6:7], -v[196:197]
	s_mov_b32 s10, 0x3259b75e
	s_mov_b32 s38, 0x923c349f
	;; [unrolled: 1-line block ×6, first 2 shown]
	v_add_f64 v[160:161], v[54:55], v[38:39]
	v_add_f64 v[2:3], v[72:73], v[2:3]
	v_fma_f64 v[72:73], v[140:141], s[10:11], -v[198:199]
	v_mul_f64 v[211:212], v[204:205], s[36:37]
	s_mov_b32 s22, 0xc61f0d01
	s_mov_b32 s23, 0xbfd183b1
	v_add_f64 v[180:181], v[34:35], v[22:23]
	v_add_f64 v[237:238], v[8:9], -v[16:17]
	s_mov_b32 s18, 0x6ed5f1bb
	s_mov_b32 s42, 0x4363dd80
	v_add_f64 v[2:3], v[72:73], v[2:3]
	v_fma_f64 v[72:73], v[160:161], s[22:23], -v[211:212]
	s_mov_b32 s19, 0xbfe348c8
	s_mov_b32 s43, 0x3fe0d888
	;; [unrolled: 1-line block ×4, first 2 shown]
	v_mul_f64 v[78:79], v[134:135], s[20:21]
	v_mul_f64 v[80:81], v[124:125], s[20:21]
	v_add_f64 v[168:169], v[62:63], -v[46:47]
	v_add_f64 v[2:3], v[72:73], v[2:3]
	v_add_f64 v[126:127], v[44:45], v[60:61]
	v_add_f64 v[176:177], v[58:59], -v[30:31]
	v_add_f64 v[136:137], v[28:29], v[56:57]
	v_add_f64 v[194:195], v[54:55], -v[38:39]
	;; [unrolled: 2-line block ×3, first 2 shown]
	v_mul_f64 v[184:185], v[168:169], s[24:25]
	v_add_f64 v[158:159], v[32:33], v[20:21]
	v_add_f64 v[239:240], v[10:11], -v[18:19]
	v_mul_f64 v[192:193], v[176:177], s[28:29]
	v_add_f64 v[170:171], v[8:9], v[16:17]
	v_mul_f64 v[200:201], v[194:195], s[36:37]
	s_mov_b32 s26, 0x910ea3b9
	v_mul_f64 v[202:203], v[225:226], s[40:41]
	v_fma_f64 v[74:75], v[126:127], s[6:7], v[184:185]
	s_mov_b32 s27, 0xbfeb34fa
	v_mul_f64 v[213:214], v[239:240], s[44:45]
	v_add_f64 v[178:179], v[10:11], v[18:19]
	v_mul_f64 v[86:87], v[168:169], s[40:41]
	v_mul_f64 v[88:89], v[164:165], s[40:41]
	v_add_f64 v[90:91], v[14:15], -v[26:27]
	v_add_f64 v[243:244], v[12:13], -v[24:25]
	v_fma_f64 v[72:73], v[180:181], s[18:19], -v[76:77]
	v_mul_f64 v[76:77], v[237:238], s[44:45]
	v_add_f64 v[0:1], v[74:75], v[0:1]
	v_fma_f64 v[74:75], v[136:137], s[10:11], v[192:193]
	s_mov_b32 s46, 0xacd6c6b4
	s_mov_b32 s47, 0xbfc7851a
	v_mul_f64 v[82:83], v[90:91], s[46:47]
	v_mul_f64 v[84:85], v[243:244], s[46:47]
	buffer_store_dword v76, off, s[64:67], 0 offset:32 ; 4-byte Folded Spill
	s_nop 0
	buffer_store_dword v77, off, s[64:67], 0 offset:36 ; 4-byte Folded Spill
	buffer_store_dword v78, off, s[64:67], 0 offset:80 ; 4-byte Folded Spill
	s_nop 0
	buffer_store_dword v79, off, s[64:67], 0 offset:84 ; 4-byte Folded Spill
	;; [unrolled: 3-line block ×3, first 2 shown]
	v_add_f64 v[0:1], v[74:75], v[0:1]
	v_fma_f64 v[74:75], v[148:149], s[22:23], v[200:201]
	v_add_f64 v[2:3], v[72:73], v[2:3]
	v_add_f64 v[190:191], v[14:15], v[26:27]
	s_mov_b32 s34, 0x7faef3
	s_mov_b32 s35, 0xbfef7484
	;; [unrolled: 1-line block ×4, first 2 shown]
	v_mul_f64 v[92:93], v[237:238], s[52:53]
	v_add_f64 v[0:1], v[74:75], v[0:1]
	v_fma_f64 v[74:75], v[158:159], s[18:19], v[202:203]
	v_add_f64 v[188:189], v[12:13], v[24:25]
	s_mov_b32 s55, 0x3fd71e95
	s_mov_b32 s54, s16
	v_mul_f64 v[94:95], v[243:244], s[54:55]
	v_mul_f64 v[96:97], v[239:240], s[28:29]
	;; [unrolled: 1-line block ×4, first 2 shown]
	v_add_f64 v[0:1], v[74:75], v[0:1]
	v_fma_f64 v[74:75], v[170:171], s[26:27], v[213:214]
	v_mul_f64 v[233:234], v[152:153], s[40:41]
	v_mul_f64 v[247:248], v[150:151], s[40:41]
	s_mov_b32 s51, 0x3fc7851a
	s_mov_b32 s50, s46
	v_mul_f64 v[235:236], v[168:169], s[50:51]
	v_mul_f64 v[253:254], v[164:165], s[50:51]
	;; [unrolled: 1-line block ×3, first 2 shown]
	v_add_f64 v[0:1], v[74:75], v[0:1]
	v_mul_f64 v[249:250], v[182:183], s[38:39]
	s_mov_b32 s49, 0x3fe58eea
	s_mov_b32 s48, s20
	v_mul_f64 v[223:224], v[194:195], s[48:49]
	v_mul_f64 v[217:218], v[239:240], s[52:53]
	;; [unrolled: 1-line block ×17, first 2 shown]
	s_mov_b32 s57, 0x3fe9895b
	s_mov_b32 s56, s40
	v_mul_f64 v[104:105], v[239:240], s[56:57]
	v_fma_f64 v[72:73], v[178:179], s[26:27], -v[76:77]
	v_fma_f64 v[74:75], v[98:99], s[4:5], v[78:79]
	v_mul_f64 v[78:79], v[152:153], s[28:29]
	v_fma_f64 v[76:77], v[100:101], s[4:5], -v[80:81]
	v_mul_f64 v[80:81], v[150:151], s[28:29]
	buffer_store_dword v78, off, s[64:67], 0 offset:96 ; 4-byte Folded Spill
	s_nop 0
	buffer_store_dword v79, off, s[64:67], 0 offset:100 ; 4-byte Folded Spill
	buffer_store_dword v80, off, s[64:67], 0 offset:176 ; 4-byte Folded Spill
	s_nop 0
	buffer_store_dword v81, off, s[64:67], 0 offset:180 ; 4-byte Folded Spill
	;; [unrolled: 3-line block ×4, first 2 shown]
	v_add_f64 v[74:75], v[4:5], v[74:75]
	v_add_f64 v[76:77], v[6:7], v[76:77]
	buffer_store_dword v82, off, s[64:67], 0 offset:48 ; 4-byte Folded Spill
	s_nop 0
	buffer_store_dword v83, off, s[64:67], 0 offset:52 ; 4-byte Folded Spill
	buffer_store_dword v84, off, s[64:67], 0 offset:64 ; 4-byte Folded Spill
	s_nop 0
	buffer_store_dword v85, off, s[64:67], 0 offset:68 ; 4-byte Folded Spill
	v_add_f64 v[2:3], v[72:73], v[2:3]
	v_fma_f64 v[78:79], v[120:121], s[10:11], v[78:79]
	v_fma_f64 v[80:81], v[130:131], s[10:11], -v[80:81]
	v_fma_f64 v[82:83], v[188:189], s[34:35], v[82:83]
	v_add_f64 v[74:75], v[78:79], v[74:75]
	v_fma_f64 v[78:79], v[126:127], s[18:19], v[86:87]
	v_add_f64 v[76:77], v[80:81], v[76:77]
	v_fma_f64 v[80:81], v[142:143], s[18:19], -v[88:89]
	v_mul_f64 v[86:87], v[176:177], s[46:47]
	v_mul_f64 v[88:89], v[182:183], s[46:47]
	buffer_store_dword v86, off, s[64:67], 0 offset:128 ; 4-byte Folded Spill
	s_nop 0
	buffer_store_dword v87, off, s[64:67], 0 offset:132 ; 4-byte Folded Spill
	buffer_store_dword v88, off, s[64:67], 0 offset:144 ; 4-byte Folded Spill
	s_nop 0
	buffer_store_dword v89, off, s[64:67], 0 offset:148 ; 4-byte Folded Spill
	v_fma_f64 v[72:73], v[190:191], s[34:35], -v[84:85]
	v_add_f64 v[76:77], v[80:81], v[76:77]
	v_add_f64 v[74:75], v[78:79], v[74:75]
	;; [unrolled: 1-line block ×3, first 2 shown]
	v_fma_f64 v[84:85], v[120:121], s[18:19], v[233:234]
	v_mul_f64 v[0:1], v[194:195], s[42:43]
	v_add_f64 v[209:210], v[72:73], v[2:3]
	v_mul_f64 v[2:3], v[204:205], s[42:43]
	buffer_store_dword v2, off, s[64:67], 0 offset:224 ; 4-byte Folded Spill
	s_nop 0
	buffer_store_dword v3, off, s[64:67], 0 offset:228 ; 4-byte Folded Spill
	v_fma_f64 v[78:79], v[136:137], s[34:35], v[86:87]
	v_fma_f64 v[80:81], v[140:141], s[34:35], -v[88:89]
	v_mul_f64 v[88:89], v[221:222], s[38:39]
	buffer_store_dword v88, off, s[64:67], 0 offset:192 ; 4-byte Folded Spill
	s_nop 0
	buffer_store_dword v89, off, s[64:67], 0 offset:196 ; 4-byte Folded Spill
	buffer_store_dword v92, off, s[64:67], 0 offset:232 ; 4-byte Folded Spill
	s_nop 0
	buffer_store_dword v93, off, s[64:67], 0 offset:236 ; 4-byte Folded Spill
	v_add_f64 v[72:73], v[78:79], v[74:75]
	v_add_f64 v[74:75], v[80:81], v[76:77]
	v_fma_f64 v[76:77], v[98:99], s[6:7], v[231:232]
	v_fma_f64 v[78:79], v[100:101], s[6:7], -v[245:246]
	v_fma_f64 v[86:87], v[130:131], s[18:19], -v[247:248]
	v_fma_f64 v[80:81], v[148:149], s[26:27], v[0:1]
	v_fma_f64 v[82:83], v[160:161], s[26:27], -v[2:3]
	v_mul_f64 v[2:3], v[225:226], s[38:39]
	v_add_f64 v[76:77], v[4:5], v[76:77]
	v_add_f64 v[78:79], v[6:7], v[78:79]
	;; [unrolled: 1-line block ×4, first 2 shown]
	v_fma_f64 v[80:81], v[158:159], s[22:23], v[2:3]
	v_add_f64 v[76:77], v[84:85], v[76:77]
	v_add_f64 v[78:79], v[86:87], v[78:79]
	v_fma_f64 v[84:85], v[126:127], s[34:35], v[235:236]
	v_fma_f64 v[86:87], v[142:143], s[34:35], -v[253:254]
	v_add_f64 v[72:73], v[80:81], v[72:73]
	v_fma_f64 v[80:81], v[170:171], s[6:7], v[217:218]
	v_add_f64 v[76:77], v[84:85], v[76:77]
	v_add_f64 v[78:79], v[86:87], v[78:79]
	v_fma_f64 v[84:85], v[136:137], s[22:23], v[241:242]
	v_fma_f64 v[86:87], v[140:141], s[22:23], -v[249:250]
	v_add_f64 v[72:73], v[80:81], v[72:73]
	v_fma_f64 v[80:81], v[188:189], s[2:3], v[219:220]
	v_add_f64 v[76:77], v[84:85], v[76:77]
	v_add_f64 v[78:79], v[86:87], v[78:79]
	v_fma_f64 v[84:85], v[148:149], s[4:5], v[223:224]
	v_add_f64 v[108:109], v[80:81], v[72:73]
	v_add_f64 v[76:77], v[84:85], v[76:77]
	v_fma_f64 v[82:83], v[180:181], s[22:23], -v[88:89]
	v_mul_f64 v[88:89], v[204:205], s[48:49]
	v_add_f64 v[74:75], v[82:83], v[74:75]
	v_fma_f64 v[82:83], v[178:179], s[6:7], -v[92:93]
	v_mul_f64 v[92:93], v[225:226], s[16:17]
	buffer_store_dword v92, off, s[64:67], 0 offset:248 ; 4-byte Folded Spill
	s_nop 0
	buffer_store_dword v93, off, s[64:67], 0 offset:252 ; 4-byte Folded Spill
	buffer_store_dword v94, off, s[64:67], 0 offset:240 ; 4-byte Folded Spill
	s_nop 0
	buffer_store_dword v95, off, s[64:67], 0 offset:244 ; 4-byte Folded Spill
	;; [unrolled: 3-line block ×3, first 2 shown]
	v_fma_f64 v[86:87], v[160:161], s[4:5], -v[88:89]
	v_add_f64 v[74:75], v[82:83], v[74:75]
	s_waitcnt vmcnt(0)
	s_barrier
	v_add_f64 v[78:79], v[86:87], v[78:79]
	v_fma_f64 v[86:87], v[180:181], s[2:3], -v[251:252]
	v_add_f64 v[78:79], v[86:87], v[78:79]
	v_fma_f64 v[84:85], v[158:159], s[2:3], v[92:93]
	v_mul_f64 v[92:93], v[237:238], s[28:29]
	v_fma_f64 v[82:83], v[190:191], s[2:3], -v[94:95]
	v_mul_f64 v[94:95], v[90:91], s[48:49]
	v_add_f64 v[76:77], v[84:85], v[76:77]
	v_fma_f64 v[84:85], v[170:171], s[10:11], v[96:97]
	v_fma_f64 v[86:87], v[178:179], s[10:11], -v[92:93]
	v_mul_f64 v[96:97], v[134:135], s[28:29]
	v_add_f64 v[110:111], v[82:83], v[74:75]
	v_add_f64 v[72:73], v[84:85], v[76:77]
	;; [unrolled: 1-line block ×3, first 2 shown]
	v_fma_f64 v[76:77], v[188:189], s[26:27], v[227:228]
	v_fma_f64 v[78:79], v[190:191], s[26:27], -v[229:230]
	v_fma_f64 v[80:81], v[98:99], s[10:11], v[96:97]
	v_add_f64 v[112:113], v[76:77], v[72:73]
	v_add_f64 v[114:115], v[78:79], v[74:75]
	;; [unrolled: 1-line block ×3, first 2 shown]
	v_fma_f64 v[74:75], v[120:121], s[34:35], v[102:103]
	v_fma_f64 v[76:77], v[130:131], s[34:35], -v[144:145]
	v_add_f64 v[72:73], v[74:75], v[72:73]
	v_fma_f64 v[74:75], v[100:101], s[10:11], -v[138:139]
	v_add_f64 v[74:75], v[6:7], v[74:75]
	v_add_f64 v[74:75], v[76:77], v[74:75]
	v_fma_f64 v[76:77], v[126:127], s[22:23], v[128:129]
	v_add_f64 v[72:73], v[76:77], v[72:73]
	v_fma_f64 v[76:77], v[142:143], s[22:23], -v[154:155]
	v_add_f64 v[74:75], v[76:77], v[74:75]
	v_fma_f64 v[76:77], v[136:137], s[2:3], v[122:123]
	v_add_f64 v[72:73], v[76:77], v[72:73]
	v_fma_f64 v[76:77], v[140:141], s[2:3], -v[146:147]
	;; [unrolled: 4-line block ×4, first 2 shown]
	v_add_f64 v[74:75], v[76:77], v[74:75]
	v_fma_f64 v[76:77], v[170:171], s[18:19], v[104:105]
	v_add_f64 v[76:77], v[76:77], v[72:73]
	v_mul_f64 v[72:73], v[237:238], s[56:57]
	v_fma_f64 v[78:79], v[178:179], s[18:19], -v[72:73]
	v_add_f64 v[78:79], v[78:79], v[74:75]
	v_fma_f64 v[74:75], v[188:189], s[4:5], v[94:95]
	v_add_f64 v[116:117], v[74:75], v[76:77]
	v_mul_f64 v[74:75], v[243:244], s[48:49]
	v_fma_f64 v[76:77], v[190:191], s[4:5], -v[74:75]
	v_add_f64 v[118:119], v[76:77], v[78:79]
	s_and_saveexec_b64 s[30:31], vcc
	s_cbranch_execz .LBB0_7
; %bb.6:
	v_mul_f64 v[76:77], v[100:101], s[34:35]
	v_mul_f64 v[80:81], v[130:131], s[2:3]
	v_mul_f64 v[86:87], v[152:153], s[54:55]
	buffer_store_dword v166, off, s[64:67], 0 offset:312 ; 4-byte Folded Spill
	s_nop 0
	buffer_store_dword v167, off, s[64:67], 0 offset:316 ; 4-byte Folded Spill
	buffer_store_dword v172, off, s[64:67], 0 offset:344 ; 4-byte Folded Spill
	s_nop 0
	buffer_store_dword v173, off, s[64:67], 0 offset:348 ; 4-byte Folded Spill
	;; [unrolled: 3-line block ×5, first 2 shown]
	v_fma_f64 v[78:79], v[124:125], s[50:51], v[76:77]
	v_fma_f64 v[82:83], v[150:151], s[16:17], v[80:81]
	;; [unrolled: 1-line block ×3, first 2 shown]
	buffer_store_dword v192, off, s[64:67], 0 offset:288 ; 4-byte Folded Spill
	s_nop 0
	buffer_store_dword v193, off, s[64:67], 0 offset:292 ; 4-byte Folded Spill
	v_fma_f64 v[76:77], v[124:125], s[46:47], v[76:77]
	buffer_store_dword v196, off, s[64:67], 0 offset:352 ; 4-byte Folded Spill
	s_nop 0
	buffer_store_dword v197, off, s[64:67], 0 offset:356 ; 4-byte Folded Spill
	v_fma_f64 v[80:81], v[150:151], s[54:55], v[80:81]
	buffer_store_dword v198, off, s[64:67], 0 offset:328 ; 4-byte Folded Spill
	s_nop 0
	buffer_store_dword v199, off, s[64:67], 0 offset:332 ; 4-byte Folded Spill
	v_add_f64 v[78:79], v[6:7], v[78:79]
	buffer_store_dword v200, off, s[64:67], 0 offset:296 ; 4-byte Folded Spill
	s_nop 0
	buffer_store_dword v201, off, s[64:67], 0 offset:300 ; 4-byte Folded Spill
	buffer_store_dword v202, off, s[64:67], 0 offset:280 ; 4-byte Folded Spill
	s_nop 0
	buffer_store_dword v203, off, s[64:67], 0 offset:284 ; 4-byte Folded Spill
	;; [unrolled: 3-line block ×3, first 2 shown]
	v_add_f64 v[76:77], v[6:7], v[76:77]
	buffer_store_dword v207, off, s[64:67], 0 ; 4-byte Folded Spill
	s_nop 0
	buffer_store_dword v208, off, s[64:67], 0 offset:4 ; 4-byte Folded Spill
	buffer_store_dword v209, off, s[64:67], 0 offset:8 ; 4-byte Folded Spill
	;; [unrolled: 1-line block ×3, first 2 shown]
	v_mov_b32_e32 v0, v206
	s_mov_b32 s59, 0x3fefdd0d
	v_add_f64 v[78:79], v[82:83], v[78:79]
	v_mul_f64 v[82:83], v[134:135], s[46:47]
	s_mov_b32 s58, s28
	buffer_store_dword v229, off, s[64:67], 0 offset:392 ; 4-byte Folded Spill
	s_nop 0
	buffer_store_dword v230, off, s[64:67], 0 offset:396 ; 4-byte Folded Spill
	v_add_f64 v[76:77], v[80:81], v[76:77]
	buffer_store_dword v227, off, s[64:67], 0 offset:384 ; 4-byte Folded Spill
	s_nop 0
	buffer_store_dword v228, off, s[64:67], 0 offset:388 ; 4-byte Folded Spill
	v_add_f64 v[68:69], v[4:5], v[68:69]
	v_add_f64 v[70:71], v[6:7], v[70:71]
	v_fma_f64 v[84:85], v[98:99], s[34:35], v[82:83]
	v_fma_f64 v[80:81], v[98:99], s[34:35], -v[82:83]
	v_fma_f64 v[82:83], v[120:121], s[2:3], -v[86:87]
	v_mul_f64 v[86:87], v[130:131], s[6:7]
	v_add_f64 v[68:69], v[64:65], v[68:69]
	v_add_f64 v[70:71], v[66:67], v[70:71]
	;; [unrolled: 1-line block ×7, first 2 shown]
	v_mul_f64 v[166:167], v[142:143], s[26:27]
	v_add_f64 v[80:81], v[82:83], v[80:81]
	v_add_f64 v[68:69], v[56:57], v[68:69]
	;; [unrolled: 1-line block ×3, first 2 shown]
	v_fma_f64 v[172:173], v[164:165], s[42:43], v[166:167]
	v_fma_f64 v[82:83], v[164:165], s[44:45], v[166:167]
	v_mul_f64 v[166:167], v[142:143], s[10:11]
	v_add_f64 v[68:69], v[52:53], v[68:69]
	v_add_f64 v[54:55], v[54:55], v[70:71]
	;; [unrolled: 1-line block ×3, first 2 shown]
	v_mul_f64 v[172:173], v[168:169], s[44:45]
	v_add_f64 v[76:77], v[82:83], v[76:77]
	v_add_f64 v[20:21], v[20:21], v[68:69]
	;; [unrolled: 1-line block ×3, first 2 shown]
	v_fma_f64 v[174:175], v[126:127], s[26:27], v[172:173]
	v_fma_f64 v[82:83], v[126:127], s[26:27], -v[172:173]
	v_mul_f64 v[172:173], v[140:141], s[18:19]
	v_add_f64 v[8:9], v[8:9], v[20:21]
	v_add_f64 v[10:11], v[10:11], v[22:23]
	;; [unrolled: 1-line block ×3, first 2 shown]
	v_mul_f64 v[174:175], v[140:141], s[4:5]
	v_add_f64 v[80:81], v[82:83], v[80:81]
	v_add_f64 v[8:9], v[12:13], v[8:9]
	;; [unrolled: 1-line block ×3, first 2 shown]
	v_fma_f64 v[184:185], v[182:183], s[20:21], v[174:175]
	v_fma_f64 v[82:83], v[182:183], s[48:49], v[174:175]
	v_mul_f64 v[174:175], v[160:161], s[2:3]
	v_add_f64 v[8:9], v[24:25], v[8:9]
	v_add_f64 v[10:11], v[26:27], v[10:11]
	;; [unrolled: 1-line block ×3, first 2 shown]
	v_mul_f64 v[184:185], v[176:177], s[48:49]
	v_add_f64 v[76:77], v[82:83], v[76:77]
	v_add_f64 v[8:9], v[16:17], v[8:9]
	;; [unrolled: 1-line block ×3, first 2 shown]
	v_fma_f64 v[186:187], v[136:137], s[4:5], v[184:185]
	v_fma_f64 v[82:83], v[136:137], s[4:5], -v[184:185]
	v_mul_f64 v[184:185], v[180:181], s[34:35]
	v_add_f64 v[10:11], v[34:35], v[10:11]
	v_add_f64 v[8:9], v[32:33], v[8:9]
	v_add_f64 v[84:85], v[186:187], v[84:85]
	v_mul_f64 v[186:187], v[160:161], s[18:19]
	v_add_f64 v[80:81], v[82:83], v[80:81]
	v_add_f64 v[10:11], v[38:39], v[10:11]
	;; [unrolled: 1-line block ×3, first 2 shown]
	v_fma_f64 v[192:193], v[204:205], s[56:57], v[186:187]
	v_fma_f64 v[82:83], v[204:205], s[40:41], v[186:187]
	v_mul_f64 v[186:187], v[178:179], s[4:5]
	v_add_f64 v[10:11], v[30:31], v[10:11]
	v_add_f64 v[8:9], v[28:29], v[8:9]
	;; [unrolled: 1-line block ×3, first 2 shown]
	v_mul_f64 v[192:193], v[194:195], s[40:41]
	v_add_f64 v[76:77], v[82:83], v[76:77]
	v_add_f64 v[10:11], v[46:47], v[10:11]
	;; [unrolled: 1-line block ×3, first 2 shown]
	v_fma_f64 v[196:197], v[148:149], s[18:19], v[192:193]
	v_add_f64 v[30:31], v[42:43], v[10:11]
	v_add_f64 v[8:9], v[40:41], v[8:9]
	;; [unrolled: 1-line block ×3, first 2 shown]
	v_mul_f64 v[196:197], v[180:181], s[6:7]
	v_fma_f64 v[198:199], v[221:222], s[24:25], v[196:197]
	v_fma_f64 v[82:83], v[221:222], s[52:53], v[196:197]
	v_mul_f64 v[196:197], v[152:153], s[52:53]
	v_add_f64 v[78:79], v[198:199], v[78:79]
	v_mul_f64 v[198:199], v[225:226], s[52:53]
	v_add_f64 v[76:77], v[82:83], v[76:77]
	v_fma_f64 v[200:201], v[158:159], s[6:7], v[198:199]
	v_add_f64 v[84:85], v[200:201], v[84:85]
	v_mul_f64 v[200:201], v[178:179], s[22:23]
	v_fma_f64 v[202:203], v[237:238], s[38:39], v[200:201]
	v_fma_f64 v[82:83], v[237:238], s[36:37], v[200:201]
	v_add_f64 v[78:79], v[202:203], v[78:79]
	v_mul_f64 v[202:203], v[239:240], s[36:37]
	v_add_f64 v[76:77], v[82:83], v[76:77]
	v_fma_f64 v[82:83], v[148:149], s[18:19], -v[192:193]
	v_mul_f64 v[192:193], v[134:135], s[44:45]
	v_fma_f64 v[206:207], v[170:171], s[22:23], v[202:203]
	v_add_f64 v[80:81], v[82:83], v[80:81]
	v_fma_f64 v[82:83], v[158:159], s[6:7], -v[198:199]
	v_fma_f64 v[198:199], v[120:121], s[6:7], v[196:197]
	v_add_f64 v[84:85], v[206:207], v[84:85]
	v_mul_f64 v[206:207], v[190:191], s[10:11]
	v_add_f64 v[80:81], v[82:83], v[80:81]
	v_fma_f64 v[82:83], v[170:171], s[22:23], -v[202:203]
	v_fma_f64 v[208:209], v[243:244], s[28:29], v[206:207]
	v_add_f64 v[80:81], v[82:83], v[80:81]
	v_fma_f64 v[82:83], v[243:244], s[58:59], v[206:207]
	v_add_f64 v[229:230], v[208:209], v[78:79]
	v_mul_f64 v[78:79], v[90:91], s[58:59]
	v_fma_f64 v[208:209], v[188:189], s[10:11], v[78:79]
	v_add_f64 v[227:228], v[208:209], v[84:85]
	v_fma_f64 v[84:85], v[188:189], s[10:11], -v[78:79]
	v_add_f64 v[78:79], v[82:83], v[76:77]
	v_fma_f64 v[82:83], v[150:151], s[24:25], v[86:87]
	buffer_store_dword v227, off, s[64:67], 0 offset:264 ; 4-byte Folded Spill
	s_nop 0
	buffer_store_dword v228, off, s[64:67], 0 offset:268 ; 4-byte Folded Spill
	buffer_store_dword v229, off, s[64:67], 0 offset:272 ; 4-byte Folded Spill
	;; [unrolled: 1-line block ×3, first 2 shown]
	v_add_f64 v[76:77], v[84:85], v[80:81]
	v_mul_f64 v[84:85], v[100:101], s[26:27]
	buffer_store_dword v76, off, s[64:67], 0 offset:368 ; 4-byte Folded Spill
	s_nop 0
	buffer_store_dword v77, off, s[64:67], 0 offset:372 ; 4-byte Folded Spill
	buffer_store_dword v78, off, s[64:67], 0 offset:376 ; 4-byte Folded Spill
	;; [unrolled: 1-line block ×3, first 2 shown]
	v_fma_f64 v[80:81], v[124:125], s[42:43], v[84:85]
	v_mul_f64 v[78:79], v[190:191], s[22:23]
	v_add_f64 v[80:81], v[6:7], v[80:81]
	v_add_f64 v[80:81], v[82:83], v[80:81]
	v_fma_f64 v[82:83], v[164:165], s[58:59], v[166:167]
	v_add_f64 v[80:81], v[82:83], v[80:81]
	v_fma_f64 v[82:83], v[182:183], s[40:41], v[172:173]
	v_add_f64 v[80:81], v[82:83], v[80:81]
	v_fma_f64 v[82:83], v[204:205], s[54:55], v[174:175]
	v_add_f64 v[80:81], v[82:83], v[80:81]
	v_fma_f64 v[82:83], v[221:222], s[50:51], v[184:185]
	v_add_f64 v[80:81], v[82:83], v[80:81]
	v_fma_f64 v[82:83], v[237:238], s[20:21], v[186:187]
	v_add_f64 v[80:81], v[82:83], v[80:81]
	v_fma_f64 v[82:83], v[98:99], s[26:27], v[192:193]
	v_add_f64 v[82:83], v[4:5], v[82:83]
	v_add_f64 v[82:83], v[198:199], v[82:83]
	v_mul_f64 v[198:199], v[168:169], s[28:29]
	v_fma_f64 v[200:201], v[126:127], s[10:11], v[198:199]
	v_add_f64 v[82:83], v[200:201], v[82:83]
	v_mul_f64 v[200:201], v[176:177], s[56:57]
	v_fma_f64 v[202:203], v[136:137], s[18:19], v[200:201]
	;; [unrolled: 3-line block ×5, first 2 shown]
	v_add_f64 v[76:77], v[76:77], v[82:83]
	v_fma_f64 v[82:83], v[243:244], s[38:39], v[78:79]
	v_fma_f64 v[78:79], v[243:244], s[36:37], v[78:79]
	v_add_f64 v[229:230], v[82:83], v[80:81]
	v_mov_b32_e32 v82, v211
	v_mov_b32_e32 v83, v212
	v_mul_f64 v[210:211], v[90:91], s[36:37]
	v_fma_f64 v[80:81], v[188:189], s[22:23], v[210:211]
	v_add_f64 v[227:228], v[80:81], v[76:77]
	v_fma_f64 v[76:77], v[124:125], s[44:45], v[84:85]
	v_fma_f64 v[84:85], v[150:151], s[52:53], v[86:87]
	v_fma_f64 v[86:87], v[120:121], s[6:7], -v[196:197]
	v_mul_f64 v[196:197], v[152:153], s[38:39]
	v_mov_b32_e32 v80, v219
	v_mov_b32_e32 v81, v220
	;; [unrolled: 1-line block ×4, first 2 shown]
	v_add_f64 v[76:77], v[6:7], v[76:77]
	v_mul_f64 v[212:213], v[190:191], s[6:7]
	v_mul_f64 v[214:215], v[90:91], s[52:53]
	;; [unrolled: 1-line block ×4, first 2 shown]
	v_add_f64 v[76:77], v[84:85], v[76:77]
	v_fma_f64 v[84:85], v[164:165], s[28:29], v[166:167]
	v_fma_f64 v[166:167], v[188:189], s[22:23], -v[210:211]
	v_add_f64 v[76:77], v[84:85], v[76:77]
	v_fma_f64 v[84:85], v[182:183], s[56:57], v[172:173]
	v_mul_f64 v[172:173], v[140:141], s[26:27]
	v_add_f64 v[76:77], v[84:85], v[76:77]
	v_fma_f64 v[84:85], v[204:205], s[16:17], v[174:175]
	v_mul_f64 v[174:175], v[160:161], s[10:11]
	;; [unrolled: 3-line block ×4, first 2 shown]
	v_add_f64 v[76:77], v[84:85], v[76:77]
	v_fma_f64 v[84:85], v[98:99], s[26:27], -v[192:193]
	v_mul_f64 v[192:193], v[134:135], s[40:41]
	v_mul_f64 v[134:135], v[134:135], s[36:37]
	v_add_f64 v[84:85], v[4:5], v[84:85]
	v_add_f64 v[84:85], v[86:87], v[84:85]
	v_fma_f64 v[86:87], v[126:127], s[10:11], -v[198:199]
	v_fma_f64 v[198:199], v[120:121], s[22:23], v[196:197]
	v_add_f64 v[84:85], v[86:87], v[84:85]
	v_fma_f64 v[86:87], v[136:137], s[18:19], -v[200:201]
	v_add_f64 v[84:85], v[86:87], v[84:85]
	v_fma_f64 v[86:87], v[148:149], s[2:3], -v[202:203]
	;; [unrolled: 2-line block ×4, first 2 shown]
	v_add_f64 v[84:85], v[86:87], v[84:85]
	v_add_f64 v[86:87], v[78:79], v[76:77]
	v_mul_f64 v[76:77], v[100:101], s[18:19]
	v_mul_f64 v[78:79], v[130:131], s[22:23]
	v_add_f64 v[84:85], v[166:167], v[84:85]
	v_mul_f64 v[166:167], v[142:143], s[2:3]
	v_fma_f64 v[64:65], v[124:125], s[56:57], v[76:77]
	v_fma_f64 v[66:67], v[150:151], s[36:37], v[78:79]
	;; [unrolled: 1-line block ×4, first 2 shown]
	v_fma_f64 v[76:77], v[120:121], s[22:23], -v[196:197]
	v_fma_f64 v[78:79], v[188:189], s[6:7], -v[214:215]
	v_add_f64 v[64:65], v[6:7], v[64:65]
	v_add_f64 v[60:61], v[6:7], v[60:61]
	;; [unrolled: 1-line block ×3, first 2 shown]
	v_fma_f64 v[66:67], v[164:165], s[54:55], v[166:167]
	v_add_f64 v[60:61], v[62:63], v[60:61]
	v_fma_f64 v[62:63], v[164:165], s[16:17], v[166:167]
	v_mul_f64 v[166:167], v[142:143], s[4:5]
	v_add_f64 v[64:65], v[66:67], v[64:65]
	v_fma_f64 v[66:67], v[182:183], s[42:43], v[172:173]
	v_add_f64 v[60:61], v[62:63], v[60:61]
	v_fma_f64 v[62:63], v[182:183], s[44:45], v[172:173]
	v_mul_f64 v[172:173], v[140:141], s[6:7]
	v_fma_f64 v[70:71], v[164:165], s[48:49], v[166:167]
	v_add_f64 v[64:65], v[66:67], v[64:65]
	v_fma_f64 v[66:67], v[204:205], s[28:29], v[174:175]
	v_add_f64 v[60:61], v[62:63], v[60:61]
	v_fma_f64 v[62:63], v[204:205], s[58:59], v[174:175]
	v_mul_f64 v[174:175], v[160:161], s[34:35]
	v_add_f64 v[64:65], v[66:67], v[64:65]
	v_fma_f64 v[66:67], v[221:222], s[48:49], v[184:185]
	v_add_f64 v[60:61], v[62:63], v[60:61]
	v_fma_f64 v[62:63], v[221:222], s[20:21], v[184:185]
	v_mul_f64 v[184:185], v[180:181], s[10:11]
	;; [unrolled: 5-line block ×3, first 2 shown]
	v_add_f64 v[64:65], v[66:67], v[64:65]
	v_fma_f64 v[66:67], v[98:99], s[18:19], v[192:193]
	v_add_f64 v[60:61], v[62:63], v[60:61]
	v_fma_f64 v[62:63], v[98:99], s[18:19], -v[192:193]
	v_fma_f64 v[192:193], v[120:121], s[26:27], v[152:153]
	v_add_f64 v[66:67], v[4:5], v[66:67]
	v_add_f64 v[62:63], v[4:5], v[62:63]
	;; [unrolled: 1-line block ×3, first 2 shown]
	v_mul_f64 v[198:199], v[168:169], s[16:17]
	v_add_f64 v[62:63], v[76:77], v[62:63]
	v_mul_f64 v[168:169], v[168:169], s[48:49]
	v_fma_f64 v[200:201], v[126:127], s[2:3], v[198:199]
	v_fma_f64 v[76:77], v[126:127], s[2:3], -v[198:199]
	v_add_f64 v[66:67], v[200:201], v[66:67]
	v_mul_f64 v[200:201], v[176:177], s[44:45]
	v_add_f64 v[62:63], v[76:77], v[62:63]
	v_mul_f64 v[176:177], v[176:177], s[24:25]
	v_fma_f64 v[202:203], v[136:137], s[26:27], v[200:201]
	v_fma_f64 v[76:77], v[136:137], s[26:27], -v[200:201]
	v_mul_f64 v[200:201], v[190:191], s[18:19]
	v_add_f64 v[66:67], v[202:203], v[66:67]
	v_mul_f64 v[202:203], v[194:195], s[58:59]
	v_add_f64 v[62:63], v[76:77], v[62:63]
	v_fma_f64 v[206:207], v[148:149], s[10:11], v[202:203]
	v_fma_f64 v[76:77], v[148:149], s[10:11], -v[202:203]
	v_add_f64 v[66:67], v[206:207], v[66:67]
	v_mul_f64 v[206:207], v[225:226], s[20:21]
	v_add_f64 v[62:63], v[76:77], v[62:63]
	v_fma_f64 v[208:209], v[158:159], s[4:5], v[206:207]
	v_fma_f64 v[76:77], v[158:159], s[4:5], -v[206:207]
	v_mov_b32_e32 v206, v0
	v_add_f64 v[66:67], v[208:209], v[66:67]
	v_mul_f64 v[208:209], v[239:240], s[46:47]
	v_add_f64 v[62:63], v[76:77], v[62:63]
	v_fma_f64 v[76:77], v[170:171], s[34:35], -v[208:209]
	v_fma_f64 v[210:211], v[170:171], s[34:35], v[208:209]
	v_add_f64 v[76:77], v[76:77], v[62:63]
	v_fma_f64 v[62:63], v[243:244], s[52:53], v[212:213]
	v_add_f64 v[210:211], v[210:211], v[66:67]
	;; [unrolled: 2-line block ×3, first 2 shown]
	v_add_f64 v[60:61], v[78:79], v[76:77]
	v_mul_f64 v[76:77], v[100:101], s[22:23]
	v_mul_f64 v[78:79], v[130:131], s[26:27]
	v_add_f64 v[66:67], v[66:67], v[64:65]
	v_fma_f64 v[64:65], v[188:189], s[6:7], v[214:215]
	v_fma_f64 v[56:57], v[124:125], s[38:39], v[76:77]
	;; [unrolled: 1-line block ×5, first 2 shown]
	v_fma_f64 v[78:79], v[120:121], s[26:27], -v[152:153]
	v_mul_f64 v[124:125], v[100:101], s[10:11]
	v_add_f64 v[64:65], v[64:65], v[210:211]
	buffer_load_dword v207, off, s[64:67], 0 ; 4-byte Folded Reload
	buffer_load_dword v208, off, s[64:67], 0 offset:4 ; 4-byte Folded Reload
	buffer_load_dword v209, off, s[64:67], 0 offset:8 ; 4-byte Folded Reload
	;; [unrolled: 1-line block ×3, first 2 shown]
	v_add_f64 v[56:57], v[6:7], v[56:57]
	buffer_load_dword v0, off, s[64:67], 0 offset:208 ; 4-byte Folded Reload
	buffer_load_dword v1, off, s[64:67], 0 offset:212 ; 4-byte Folded Reload
	v_add_f64 v[52:53], v[6:7], v[52:53]
	v_mul_f64 v[150:151], v[140:141], s[10:11]
	v_mul_f64 v[152:153], v[148:149], s[22:23]
	v_add_f64 v[124:125], v[138:139], v[124:125]
	v_mul_f64 v[138:139], v[126:127], s[6:7]
	v_add_f64 v[56:57], v[58:59], v[56:57]
	v_fma_f64 v[58:59], v[164:165], s[20:21], v[166:167]
	v_add_f64 v[52:53], v[76:77], v[52:53]
	v_fma_f64 v[76:77], v[182:183], s[24:25], v[172:173]
	v_mul_f64 v[164:165], v[180:181], s[22:23]
	v_add_f64 v[124:125], v[6:7], v[124:125]
	v_mul_f64 v[166:167], v[178:179], s[26:27]
	v_add_f64 v[56:57], v[58:59], v[56:57]
	v_fma_f64 v[58:59], v[182:183], s[52:53], v[172:173]
	v_add_f64 v[52:53], v[70:71], v[52:53]
	v_fma_f64 v[70:71], v[204:205], s[46:47], v[174:175]
	v_mul_f64 v[172:173], v[188:189], s[34:35]
	v_add_f64 v[56:57], v[58:59], v[56:57]
	v_fma_f64 v[58:59], v[204:205], s[50:51], v[174:175]
	v_add_f64 v[52:53], v[76:77], v[52:53]
	v_fma_f64 v[76:77], v[221:222], s[58:59], v[184:185]
	;; [unrolled: 5-line block ×3, first 2 shown]
	v_add_f64 v[56:57], v[58:59], v[56:57]
	v_fma_f64 v[58:59], v[237:238], s[54:55], v[186:187]
	v_add_f64 v[52:53], v[76:77], v[52:53]
	v_fma_f64 v[76:77], v[243:244], s[40:41], v[200:201]
	;; [unrolled: 2-line block ×3, first 2 shown]
	v_add_f64 v[52:53], v[70:71], v[52:53]
	v_fma_f64 v[70:71], v[98:99], s[22:23], -v[134:135]
	v_mul_f64 v[134:135], v[130:131], s[34:35]
	v_add_f64 v[58:59], v[4:5], v[58:59]
	v_add_f64 v[52:53], v[76:77], v[52:53]
	;; [unrolled: 1-line block ×4, first 2 shown]
	v_mul_f64 v[144:145], v[126:127], s[18:19]
	v_add_f64 v[58:59], v[192:193], v[58:59]
	v_fma_f64 v[192:193], v[126:127], s[4:5], v[168:169]
	v_add_f64 v[70:71], v[78:79], v[70:71]
	v_fma_f64 v[78:79], v[126:127], s[4:5], -v[168:169]
	v_add_f64 v[124:125], v[134:135], v[124:125]
	v_mul_f64 v[134:135], v[140:141], s[2:3]
	v_mul_f64 v[168:169], v[178:179], s[6:7]
	v_add_f64 v[58:59], v[192:193], v[58:59]
	v_fma_f64 v[192:193], v[136:137], s[6:7], v[176:177]
	v_add_f64 v[70:71], v[78:79], v[70:71]
	v_fma_f64 v[78:79], v[136:137], s[6:7], -v[176:177]
	v_add_f64 v[134:135], v[146:147], v[134:135]
	v_mul_f64 v[176:177], v[188:189], s[26:27]
	v_mul_f64 v[146:147], v[136:137], s[10:11]
	v_add_f64 v[58:59], v[192:193], v[58:59]
	v_mul_f64 v[192:193], v[194:195], s[46:47]
	v_add_f64 v[70:71], v[78:79], v[70:71]
	v_fma_f64 v[194:195], v[148:149], s[34:35], v[192:193]
	v_fma_f64 v[78:79], v[148:149], s[34:35], -v[192:193]
	v_add_f64 v[58:59], v[194:195], v[58:59]
	v_mul_f64 v[194:195], v[225:226], s[58:59]
	v_add_f64 v[70:71], v[78:79], v[70:71]
	v_fma_f64 v[196:197], v[158:159], s[10:11], v[194:195]
	v_fma_f64 v[78:79], v[158:159], s[10:11], -v[194:195]
	v_add_f64 v[58:59], v[196:197], v[58:59]
	v_mul_f64 v[196:197], v[239:240], s[16:17]
	v_add_f64 v[70:71], v[78:79], v[70:71]
	v_fma_f64 v[78:79], v[170:171], s[2:3], -v[196:197]
	v_fma_f64 v[198:199], v[170:171], s[2:3], v[196:197]
	v_add_f64 v[78:79], v[78:79], v[70:71]
	v_mul_f64 v[70:71], v[142:143], s[22:23]
	v_add_f64 v[198:199], v[198:199], v[58:59]
	v_fma_f64 v[58:59], v[243:244], s[56:57], v[200:201]
	v_add_f64 v[70:71], v[154:155], v[70:71]
	v_mul_f64 v[154:155], v[160:161], s[22:23]
	v_add_f64 v[58:59], v[58:59], v[56:57]
	v_fma_f64 v[56:57], v[188:189], s[18:19], v[90:91]
	v_fma_f64 v[90:91], v[188:189], s[18:19], -v[90:91]
	v_add_f64 v[70:71], v[70:71], v[124:125]
	v_mul_f64 v[124:125], v[160:161], s[6:7]
	v_add_f64 v[56:57], v[56:57], v[198:199]
	v_add_f64 v[70:71], v[134:135], v[70:71]
	;; [unrolled: 1-line block ×3, first 2 shown]
	v_mul_f64 v[134:135], v[180:181], s[26:27]
	v_mul_f64 v[156:157], v[148:149], s[26:27]
	v_add_f64 v[70:71], v[124:125], v[70:71]
	v_mul_f64 v[124:125], v[178:179], s[18:19]
	v_add_f64 v[134:135], v[162:163], v[134:135]
	;; [unrolled: 2-line block ×4, first 2 shown]
	v_mul_f64 v[134:135], v[160:161], s[4:5]
	v_mul_f64 v[160:161], v[160:161], s[26:27]
	v_add_f64 v[74:75], v[74:75], v[124:125]
	v_mul_f64 v[124:125], v[98:99], s[10:11]
	v_add_f64 v[70:71], v[72:73], v[70:71]
	;; [unrolled: 2-line block ×3, first 2 shown]
	v_mul_f64 v[134:135], v[130:131], s[4:5]
	v_mul_f64 v[126:127], v[126:127], s[34:35]
	v_add_f64 v[96:97], v[124:125], -v[96:97]
	v_mul_f64 v[124:125], v[120:121], s[34:35]
	v_add_f64 v[72:73], v[72:73], -v[128:129]
	v_mul_f64 v[128:129], v[142:143], s[34:35]
	v_add_f64 v[70:71], v[74:75], v[70:71]
	v_add_f64 v[126:127], v[126:127], -v[235:236]
	v_add_f64 v[96:97], v[4:5], v[96:97]
	v_add_f64 v[102:103], v[124:125], -v[102:103]
	v_mul_f64 v[124:125], v[130:131], s[18:19]
	v_mul_f64 v[130:131], v[130:131], s[10:11]
	v_add_f64 v[128:129], v[253:254], v[128:129]
	v_add_f64 v[96:97], v[102:103], v[96:97]
	v_mul_f64 v[102:103], v[136:137], s[2:3]
	v_add_f64 v[124:125], v[247:248], v[124:125]
	v_add_f64 v[72:73], v[72:73], v[96:97]
	v_mul_f64 v[96:97], v[148:149], s[6:7]
	v_add_f64 v[102:103], v[102:103], -v[122:123]
	v_mul_f64 v[122:123], v[100:101], s[6:7]
	v_mul_f64 v[148:149], v[148:149], s[4:5]
	v_add_f64 v[96:97], v[96:97], -v[132:133]
	v_mul_f64 v[132:133], v[100:101], s[2:3]
	v_mul_f64 v[100:101], v[100:101], s[4:5]
	v_add_f64 v[72:73], v[102:103], v[72:73]
	v_mul_f64 v[102:103], v[158:159], s[26:27]
	v_add_f64 v[122:123], v[245:246], v[122:123]
	v_add_f64 v[148:149], v[148:149], -v[223:224]
	s_waitcnt vmcnt(0)
	v_add_f64 v[100:101], v[0:1], v[100:101]
	buffer_load_dword v0, off, s[64:67], 0 offset:176 ; 4-byte Folded Reload
	buffer_load_dword v1, off, s[64:67], 0 offset:180 ; 4-byte Folded Reload
	v_add_f64 v[102:103], v[102:103], -v[106:107]
	v_mul_f64 v[106:107], v[170:171], s[18:19]
	v_add_f64 v[122:123], v[6:7], v[122:123]
	v_add_f64 v[72:73], v[96:97], v[72:73]
	v_mul_f64 v[96:97], v[98:99], s[2:3]
	v_add_f64 v[100:101], v[6:7], v[100:101]
	v_add_f64 v[104:105], v[106:107], -v[104:105]
	v_mul_f64 v[106:107], v[140:141], s[22:23]
	v_add_f64 v[122:123], v[124:125], v[122:123]
	v_mul_f64 v[140:141], v[140:141], s[34:35]
	v_mul_f64 v[124:125], v[188:189], s[4:5]
	v_add_f64 v[72:73], v[102:103], v[72:73]
	v_mul_f64 v[102:103], v[98:99], s[4:5]
	v_mul_f64 v[98:99], v[98:99], s[6:7]
	v_add_f64 v[106:107], v[249:250], v[106:107]
	v_add_f64 v[122:123], v[128:129], v[122:123]
	v_mul_f64 v[128:129], v[178:179], s[10:11]
	v_mul_f64 v[178:179], v[190:191], s[26:27]
	v_add_f64 v[94:95], v[124:125], -v[94:95]
	v_mul_f64 v[124:125], v[120:121], s[4:5]
	v_add_f64 v[98:99], v[98:99], -v[231:232]
	v_add_f64 v[72:73], v[104:105], v[72:73]
	v_mul_f64 v[104:105], v[180:181], s[2:3]
	v_add_f64 v[106:107], v[106:107], v[122:123]
	v_add_f64 v[92:93], v[92:93], v[128:129]
	v_mul_f64 v[128:129], v[120:121], s[10:11]
	v_mul_f64 v[120:121], v[120:121], s[18:19]
	;; [unrolled: 1-line block ×3, first 2 shown]
	v_add_f64 v[98:99], v[4:5], v[98:99]
	v_mul_f64 v[136:137], v[136:137], s[34:35]
	v_add_f64 v[104:105], v[251:252], v[104:105]
	v_add_f64 v[88:89], v[88:89], v[106:107]
	v_mul_f64 v[106:107], v[142:143], s[6:7]
	v_mul_f64 v[142:143], v[142:143], s[18:19]
	v_add_f64 v[120:121], v[120:121], -v[233:234]
	v_add_f64 v[122:123], v[122:123], -v[241:242]
	v_add_f64 v[74:75], v[104:105], v[88:89]
	v_add_f64 v[98:99], v[120:121], v[98:99]
	v_mul_f64 v[120:121], v[158:159], s[18:19]
	v_add_f64 v[74:75], v[92:93], v[74:75]
	v_add_f64 v[98:99], v[126:127], v[98:99]
	v_mul_f64 v[126:127], v[170:171], s[26:27]
	v_add_f64 v[98:99], v[122:123], v[98:99]
	v_mul_f64 v[122:123], v[190:191], s[34:35]
	v_add_f64 v[98:99], v[148:149], v[98:99]
	s_waitcnt vmcnt(0)
	v_add_f64 v[130:131], v[0:1], v[130:131]
	buffer_load_dword v0, off, s[64:67], 0 offset:160 ; 4-byte Folded Reload
	buffer_load_dword v1, off, s[64:67], 0 offset:164 ; 4-byte Folded Reload
	v_add_f64 v[100:101], v[130:131], v[100:101]
	v_mul_f64 v[130:131], v[158:159], s[22:23]
	v_mul_f64 v[158:159], v[158:159], s[2:3]
	s_waitcnt vmcnt(0)
	v_add_f64 v[142:143], v[0:1], v[142:143]
	buffer_load_dword v0, off, s[64:67], 0 offset:144 ; 4-byte Folded Reload
	buffer_load_dword v1, off, s[64:67], 0 offset:148 ; 4-byte Folded Reload
	v_add_f64 v[100:101], v[142:143], v[100:101]
	v_mul_f64 v[142:143], v[170:171], s[6:7]
	v_mul_f64 v[170:171], v[170:171], s[10:11]
	s_waitcnt vmcnt(0)
	v_add_f64 v[140:141], v[0:1], v[140:141]
	buffer_load_dword v0, off, s[64:67], 0 offset:224 ; 4-byte Folded Reload
	buffer_load_dword v1, off, s[64:67], 0 offset:228 ; 4-byte Folded Reload
	v_add_f64 v[100:101], v[140:141], v[100:101]
	v_mul_f64 v[140:141], v[190:191], s[2:3]
	s_waitcnt vmcnt(0)
	v_add_f64 v[160:161], v[0:1], v[160:161]
	buffer_load_dword v0, off, s[64:67], 0 offset:192 ; 4-byte Folded Reload
	buffer_load_dword v1, off, s[64:67], 0 offset:196 ; 4-byte Folded Reload
	v_add_f64 v[88:89], v[160:161], v[100:101]
	s_waitcnt vmcnt(0)
	v_add_f64 v[76:77], v[0:1], v[164:165]
	buffer_load_dword v0, off, s[64:67], 0 offset:392 ; 4-byte Folded Reload
	buffer_load_dword v1, off, s[64:67], 0 offset:396 ; 4-byte Folded Reload
	v_add_f64 v[76:77], v[76:77], v[88:89]
	s_waitcnt vmcnt(0)
	v_add_f64 v[54:55], v[0:1], v[178:179]
	buffer_load_dword v0, off, s[64:67], 0 offset:248 ; 4-byte Folded Reload
	buffer_load_dword v1, off, s[64:67], 0 offset:252 ; 4-byte Folded Reload
	s_waitcnt vmcnt(0)
	v_add_f64 v[68:69], v[158:159], -v[0:1]
	buffer_load_dword v0, off, s[64:67], 0 offset:232 ; 4-byte Folded Reload
	buffer_load_dword v1, off, s[64:67], 0 offset:236 ; 4-byte Folded Reload
	v_add_f64 v[68:69], v[68:69], v[98:99]
	s_waitcnt vmcnt(0)
	v_add_f64 v[92:93], v[0:1], v[168:169]
	buffer_load_dword v0, off, s[64:67], 0 offset:384 ; 4-byte Folded Reload
	buffer_load_dword v1, off, s[64:67], 0 offset:388 ; 4-byte Folded Reload
	v_add_f64 v[76:77], v[92:93], v[76:77]
	s_waitcnt vmcnt(0)
	v_add_f64 v[20:21], v[176:177], -v[0:1]
	buffer_load_dword v0, off, s[64:67], 0 offset:256 ; 4-byte Folded Reload
	buffer_load_dword v1, off, s[64:67], 0 offset:260 ; 4-byte Folded Reload
	s_waitcnt vmcnt(0)
	v_add_f64 v[22:23], v[170:171], -v[0:1]
	buffer_load_dword v0, off, s[64:67], 0 offset:240 ; 4-byte Folded Reload
	buffer_load_dword v1, off, s[64:67], 0 offset:244 ; 4-byte Folded Reload
	v_add_f64 v[22:23], v[22:23], v[68:69]
	v_add_f64 v[68:69], v[94:95], v[72:73]
	s_waitcnt vmcnt(0)
	v_add_f64 v[88:89], v[0:1], v[140:141]
	buffer_load_dword v0, off, s[64:67], 0 offset:344 ; 4-byte Folded Reload
	buffer_load_dword v1, off, s[64:67], 0 offset:348 ; 4-byte Folded Reload
	v_add_f64 v[10:11], v[88:89], v[76:77]
	s_waitcnt vmcnt(0)
	v_add_f64 v[98:99], v[0:1], v[132:133]
	buffer_load_dword v0, off, s[64:67], 0 offset:312 ; 4-byte Folded Reload
	buffer_load_dword v1, off, s[64:67], 0 offset:316 ; 4-byte Folded Reload
	;; [unrolled: 1-line block ×6, first 2 shown]
	v_add_f64 v[6:7], v[6:7], v[98:99]
	s_waitcnt vmcnt(4)
	v_add_f64 v[12:13], v[96:97], -v[0:1]
	buffer_load_dword v0, off, s[64:67], 0 offset:360 ; 4-byte Folded Reload
	buffer_load_dword v1, off, s[64:67], 0 offset:364 ; 4-byte Folded Reload
	s_waitcnt vmcnt(4)
	v_add_f64 v[14:15], v[102:103], -v[14:15]
	s_waitcnt vmcnt(2)
	v_add_f64 v[92:93], v[128:129], -v[92:93]
	v_add_f64 v[12:13], v[4:5], v[12:13]
	v_add_f64 v[4:5], v[4:5], v[14:15]
	;; [unrolled: 1-line block ×3, first 2 shown]
	s_waitcnt vmcnt(0)
	v_add_f64 v[96:97], v[0:1], v[134:135]
	buffer_load_dword v0, off, s[64:67], 0 offset:320 ; 4-byte Folded Reload
	buffer_load_dword v1, off, s[64:67], 0 offset:324 ; 4-byte Folded Reload
	;; [unrolled: 1-line block ×4, first 2 shown]
	v_add_f64 v[6:7], v[96:97], v[6:7]
	s_waitcnt vmcnt(2)
	v_add_f64 v[98:99], v[124:125], -v[0:1]
	buffer_load_dword v0, off, s[64:67], 0 offset:352 ; 4-byte Folded Reload
	buffer_load_dword v1, off, s[64:67], 0 offset:356 ; 4-byte Folded Reload
	s_waitcnt vmcnt(2)
	v_add_f64 v[14:15], v[144:145], -v[14:15]
	v_add_f64 v[12:13], v[98:99], v[12:13]
	v_add_f64 v[4:5], v[14:15], v[4:5]
	s_waitcnt vmcnt(0)
	v_add_f64 v[24:25], v[0:1], v[106:107]
	buffer_load_dword v0, off, s[64:67], 0 offset:304 ; 4-byte Folded Reload
	buffer_load_dword v1, off, s[64:67], 0 offset:308 ; 4-byte Folded Reload
	;; [unrolled: 1-line block ×4, first 2 shown]
	v_add_f64 v[6:7], v[24:25], v[6:7]
	s_waitcnt vmcnt(2)
	v_add_f64 v[26:27], v[138:139], -v[0:1]
	buffer_load_dword v0, off, s[64:67], 0 offset:328 ; 4-byte Folded Reload
	buffer_load_dword v1, off, s[64:67], 0 offset:332 ; 4-byte Folded Reload
	s_waitcnt vmcnt(2)
	v_add_f64 v[16:17], v[136:137], -v[16:17]
	v_add_f64 v[12:13], v[26:27], v[12:13]
	v_add_f64 v[26:27], v[82:83], v[154:155]
	;; [unrolled: 1-line block ×3, first 2 shown]
	v_add_f64 v[16:17], v[130:131], -v[2:3]
	s_waitcnt vmcnt(0)
	v_add_f64 v[18:19], v[0:1], v[150:151]
	buffer_load_dword v0, off, s[64:67], 0 offset:288 ; 4-byte Folded Reload
	buffer_load_dword v1, off, s[64:67], 0 offset:292 ; 4-byte Folded Reload
	v_add_f64 v[6:7], v[18:19], v[6:7]
	v_add_f64 v[6:7], v[26:27], v[6:7]
	s_waitcnt vmcnt(0)
	v_add_f64 v[24:25], v[146:147], -v[0:1]
	buffer_load_dword v0, off, s[64:67], 0 offset:336 ; 4-byte Folded Reload
	buffer_load_dword v1, off, s[64:67], 0 offset:340 ; 4-byte Folded Reload
	v_add_f64 v[12:13], v[24:25], v[12:13]
	s_waitcnt vmcnt(0)
	v_add_f64 v[14:15], v[156:157], -v[0:1]
	buffer_load_dword v0, off, s[64:67], 0 offset:296 ; 4-byte Folded Reload
	buffer_load_dword v1, off, s[64:67], 0 offset:300 ; 4-byte Folded Reload
	;; [unrolled: 1-line block ×4, first 2 shown]
	v_add_f64 v[4:5], v[14:15], v[4:5]
	v_add_f64 v[14:15], v[142:143], -v[217:218]
	v_add_f64 v[4:5], v[16:17], v[4:5]
	v_add_f64 v[4:5], v[14:15], v[4:5]
	s_waitcnt vmcnt(2)
	v_add_f64 v[18:19], v[152:153], -v[0:1]
	buffer_load_dword v0, off, s[64:67], 0 offset:280 ; 4-byte Folded Reload
	buffer_load_dword v1, off, s[64:67], 0 offset:284 ; 4-byte Folded Reload
	s_waitcnt vmcnt(2)
	v_add_f64 v[24:25], v[24:25], v[162:163]
	v_add_f64 v[12:13], v[18:19], v[12:13]
	buffer_load_dword v18, off, s[64:67], 0 offset:32 ; 4-byte Folded Reload
	buffer_load_dword v19, off, s[64:67], 0 offset:36 ; 4-byte Folded Reload
	v_add_f64 v[6:7], v[24:25], v[6:7]
	v_add_f64 v[24:25], v[126:127], -v[219:220]
	s_waitcnt vmcnt(2)
	v_add_f64 v[26:27], v[120:121], -v[0:1]
	buffer_load_dword v0, off, s[64:67], 0 offset:64 ; 4-byte Folded Reload
	buffer_load_dword v1, off, s[64:67], 0 offset:68 ; 4-byte Folded Reload
	s_waitcnt vmcnt(2)
	v_add_f64 v[18:19], v[18:19], v[166:167]
	v_add_f64 v[12:13], v[26:27], v[12:13]
	v_add_f64 v[26:27], v[174:175], -v[80:81]
	v_add_f64 v[18:19], v[18:19], v[6:7]
	v_add_f64 v[12:13], v[24:25], v[12:13]
	;; [unrolled: 1-line block ×3, first 2 shown]
	s_waitcnt vmcnt(0)
	v_add_f64 v[16:17], v[0:1], v[122:123]
	buffer_load_dword v0, off, s[64:67], 0 offset:48 ; 4-byte Folded Reload
	buffer_load_dword v1, off, s[64:67], 0 offset:52 ; 4-byte Folded Reload
	v_add_f64 v[14:15], v[16:17], v[18:19]
	v_add_f64 v[18:19], v[50:51], v[30:31]
	;; [unrolled: 1-line block ×6, first 2 shown]
	s_waitcnt vmcnt(0)
	v_add_f64 v[28:29], v[172:173], -v[0:1]
	v_mul_lo_u16_e32 v0, 17, v255
	v_lshlrev_b32_e32 v0, 4, v0
	v_add_f64 v[12:13], v[28:29], v[12:13]
	ds_write_b128 v0, v[16:19]
	ds_write_b128 v0, v[12:15] offset:16
	ds_write_b128 v0, v[8:11] offset:32
	;; [unrolled: 1-line block ×7, first 2 shown]
	buffer_load_dword v1, off, s[64:67], 0 offset:368 ; 4-byte Folded Reload
	buffer_load_dword v2, off, s[64:67], 0 offset:372 ; 4-byte Folded Reload
	;; [unrolled: 1-line block ×4, first 2 shown]
	s_waitcnt vmcnt(0)
	ds_write_b128 v0, v[1:4] offset:128
	buffer_load_dword v1, off, s[64:67], 0 offset:264 ; 4-byte Folded Reload
	buffer_load_dword v2, off, s[64:67], 0 offset:268 ; 4-byte Folded Reload
	;; [unrolled: 1-line block ×4, first 2 shown]
	s_waitcnt vmcnt(0)
	ds_write_b128 v0, v[1:4] offset:144
	ds_write_b128 v0, v[227:230] offset:160
	ds_write_b128 v0, v[64:67] offset:176
	ds_write_b128 v0, v[56:59] offset:192
	ds_write_b128 v0, v[116:119] offset:208
	ds_write_b128 v0, v[112:115] offset:224
	ds_write_b128 v0, v[108:111] offset:240
	ds_write_b128 v0, v[207:210] offset:256
.LBB0_7:
	s_or_b64 exec, exec, s[30:31]
	s_load_dwordx4 s[4:7], s[0:1], 0x0
	s_movk_i32 s0, 0xf1
	v_mul_lo_u16_sdwa v0, v255, s0 dst_sel:DWORD dst_unused:UNUSED_PAD src0_sel:BYTE_0 src1_sel:DWORD
	v_lshrrev_b16_e32 v64, 12, v0
	v_mul_lo_u16_e32 v0, 17, v64
	v_sub_u16_e32 v0, v255, v0
	v_and_b32_e32 v65, 0xff, v0
	v_mul_u32_u24_e32 v0, 12, v65
	v_lshlrev_b32_e32 v0, 4, v0
	s_waitcnt lgkmcnt(0)
	s_barrier
	global_load_dwordx4 v[60:63], v0, s[8:9]
	global_load_dwordx4 v[40:43], v0, s[8:9] offset:16
	global_load_dwordx4 v[32:35], v0, s[8:9] offset:32
	;; [unrolled: 1-line block ×11, first 2 shown]
	ds_read_b128 v[66:69], v216
	ds_read_b128 v[44:47], v216 offset:2176
	ds_read_b128 v[48:51], v216 offset:4352
	;; [unrolled: 1-line block ×12, first 2 shown]
	s_mov_b32 s21, 0xbfddbe06
	s_mov_b32 s20, 0x4267c47c
	;; [unrolled: 1-line block ×30, first 2 shown]
	v_mul_u32_u24_e32 v0, 0xdd, v64
	v_add_lshl_u32 v202, v0, v65, 4
	s_waitcnt vmcnt(11) lgkmcnt(11)
	v_mul_f64 v[106:107], v[46:47], v[62:63]
	s_waitcnt vmcnt(10) lgkmcnt(10)
	v_mul_f64 v[122:123], v[50:51], v[42:43]
	v_mul_f64 v[120:121], v[44:45], v[62:63]
	;; [unrolled: 1-line block ×3, first 2 shown]
	s_waitcnt vmcnt(7) lgkmcnt(7)
	v_mul_f64 v[134:135], v[76:77], v[26:27]
	v_mul_f64 v[136:137], v[74:75], v[26:27]
	;; [unrolled: 1-line block ×3, first 2 shown]
	s_waitcnt vmcnt(5) lgkmcnt(5)
	v_mul_f64 v[142:143], v[84:85], v[30:31]
	v_fma_f64 v[44:45], v[44:45], v[60:61], -v[106:107]
	v_fma_f64 v[106:107], v[48:49], v[40:41], -v[122:123]
	buffer_store_dword v40, off, s[64:67], 0 offset:96 ; 4-byte Folded Spill
	s_nop 0
	buffer_store_dword v41, off, s[64:67], 0 offset:100 ; 4-byte Folded Spill
	buffer_store_dword v42, off, s[64:67], 0 offset:104 ; 4-byte Folded Spill
	;; [unrolled: 1-line block ×3, first 2 shown]
	s_waitcnt vmcnt(7) lgkmcnt(3)
	v_mul_f64 v[150:151], v[92:93], v[22:23]
	v_fma_f64 v[74:75], v[74:75], v[24:25], -v[134:135]
	buffer_store_dword v24, off, s[64:67], 0 offset:80 ; 4-byte Folded Spill
	s_nop 0
	buffer_store_dword v25, off, s[64:67], 0 offset:84 ; 4-byte Folded Spill
	buffer_store_dword v26, off, s[64:67], 0 offset:88 ; 4-byte Folded Spill
	;; [unrolled: 1-line block ×3, first 2 shown]
	s_waitcnt vmcnt(8) lgkmcnt(0)
	v_mul_f64 v[162:163], v[104:105], v[11:12]
	v_mul_f64 v[128:129], v[52:53], v[34:35]
	;; [unrolled: 1-line block ×5, first 2 shown]
	v_fma_f64 v[122:123], v[52:53], v[32:33], -v[126:127]
	v_fma_f64 v[52:53], v[82:83], v[28:29], -v[142:143]
	;; [unrolled: 1-line block ×3, first 2 shown]
	buffer_store_dword v20, off, s[64:67], 0 offset:64 ; 4-byte Folded Spill
	s_nop 0
	buffer_store_dword v21, off, s[64:67], 0 offset:68 ; 4-byte Folded Spill
	buffer_store_dword v22, off, s[64:67], 0 offset:72 ; 4-byte Folded Spill
	;; [unrolled: 1-line block ×3, first 2 shown]
	v_fma_f64 v[90:91], v[102:103], v[9:10], -v[162:163]
	buffer_store_dword v9, off, s[64:67], 0 offset:48 ; 4-byte Folded Spill
	s_nop 0
	buffer_store_dword v10, off, s[64:67], 0 offset:52 ; 4-byte Folded Spill
	buffer_store_dword v11, off, s[64:67], 0 offset:56 ; 4-byte Folded Spill
	;; [unrolled: 1-line block ×3, first 2 shown]
	v_mul_f64 v[154:155], v[96:97], v[7:8]
	v_mul_f64 v[156:157], v[94:95], v[7:8]
	;; [unrolled: 1-line block ×7, first 2 shown]
	v_fma_f64 v[46:47], v[46:47], v[60:61], v[120:121]
	v_fma_f64 v[94:95], v[94:95], v[5:6], -v[154:155]
	buffer_store_dword v5, off, s[64:67], 0 offset:32 ; 4-byte Folded Spill
	s_nop 0
	buffer_store_dword v6, off, s[64:67], 0 offset:36 ; 4-byte Folded Spill
	buffer_store_dword v7, off, s[64:67], 0 offset:40 ; 4-byte Folded Spill
	;; [unrolled: 1-line block ×3, first 2 shown]
	v_mul_f64 v[160:161], v[98:99], v[3:4]
	v_fma_f64 v[98:99], v[98:99], v[1:2], -v[158:159]
	buffer_store_dword v1, off, s[64:67], 0 offset:16 ; 4-byte Folded Spill
	s_nop 0
	buffer_store_dword v2, off, s[64:67], 0 offset:20 ; 4-byte Folded Spill
	buffer_store_dword v3, off, s[64:67], 0 offset:24 ; 4-byte Folded Spill
	;; [unrolled: 1-line block ×3, first 2 shown]
	v_fma_f64 v[48:49], v[78:79], v[36:37], -v[138:139]
	v_fma_f64 v[78:79], v[86:87], v[211:212], -v[146:147]
	v_add_f64 v[86:87], v[66:67], v[44:45]
	v_mul_f64 v[130:131], v[72:73], v[18:19]
	v_mul_f64 v[132:133], v[70:71], v[18:19]
	v_add_f64 v[102:103], v[44:45], v[90:91]
	v_add_f64 v[44:45], v[44:45], -v[90:91]
	v_add_f64 v[126:127], v[106:107], v[98:99]
	s_waitcnt vmcnt(0)
	s_barrier
	v_add_f64 v[86:87], v[86:87], v[106:107]
	v_fma_f64 v[70:71], v[70:71], v[16:17], -v[130:131]
	v_fma_f64 v[72:73], v[72:73], v[16:17], v[132:133]
	v_add_f64 v[106:107], v[106:107], -v[98:99]
	v_mul_f64 v[132:133], v[44:45], s[20:21]
	v_add_f64 v[86:87], v[86:87], v[122:123]
	v_add_f64 v[86:87], v[86:87], v[70:71]
	;; [unrolled: 1-line block ×4, first 2 shown]
	v_fma_f64 v[120:121], v[50:51], v[40:41], v[124:125]
	v_fma_f64 v[50:51], v[80:81], v[36:37], v[140:141]
	;; [unrolled: 1-line block ×3, first 2 shown]
	v_add_f64 v[88:89], v[68:69], v[46:47]
	v_fma_f64 v[124:125], v[54:55], v[32:33], v[128:129]
	v_fma_f64 v[76:77], v[76:77], v[24:25], v[136:137]
	v_fma_f64 v[54:55], v[84:85], v[28:29], v[144:145]
	v_add_f64 v[86:87], v[86:87], v[52:53]
	v_mul_f64 v[136:137], v[44:45], s[28:29]
	v_mul_f64 v[140:141], v[44:45], s[36:37]
	;; [unrolled: 1-line block ×3, first 2 shown]
	v_add_f64 v[88:89], v[88:89], v[120:121]
	v_fma_f64 v[84:85], v[92:93], v[20:21], v[152:153]
	v_mul_f64 v[148:149], v[44:45], s[24:25]
	v_fma_f64 v[92:93], v[104:105], v[9:10], v[164:165]
	v_add_f64 v[86:87], v[86:87], v[78:79]
	v_mul_f64 v[152:153], v[44:45], s[30:31]
	v_add_f64 v[88:89], v[88:89], v[124:125]
	v_add_f64 v[104:105], v[46:47], v[92:93]
	v_add_f64 v[46:47], v[46:47], -v[92:93]
	v_fma_f64 v[96:97], v[96:97], v[5:6], v[156:157]
	v_add_f64 v[86:87], v[86:87], v[82:83]
	v_mul_f64 v[156:157], v[106:107], s[28:29]
	v_add_f64 v[88:89], v[88:89], v[72:73]
	v_fma_f64 v[100:101], v[100:101], v[1:2], v[160:161]
	v_fma_f64 v[160:161], v[104:105], s[2:3], v[136:137]
	v_mul_f64 v[130:131], v[46:47], s[20:21]
	v_mul_f64 v[134:135], v[46:47], s[28:29]
	;; [unrolled: 1-line block ×4, first 2 shown]
	v_add_f64 v[88:89], v[88:89], v[76:77]
	v_mul_f64 v[146:147], v[46:47], s[24:25]
	v_mul_f64 v[150:151], v[46:47], s[30:31]
	v_fma_f64 v[46:47], v[104:105], s[16:17], v[132:133]
	v_fma_f64 v[44:45], v[102:103], s[16:17], -v[130:131]
	v_add_f64 v[128:129], v[120:121], v[100:101]
	v_add_f64 v[120:121], v[120:121], -v[100:101]
	v_fma_f64 v[130:131], v[102:103], s[16:17], v[130:131]
	v_add_f64 v[88:89], v[88:89], v[50:51]
	v_fma_f64 v[132:133], v[104:105], s[16:17], -v[132:133]
	v_fma_f64 v[158:159], v[102:103], s[2:3], -v[134:135]
	v_add_f64 v[176:177], v[68:69], v[46:47]
	v_add_f64 v[174:175], v[66:67], v[44:45]
	;; [unrolled: 1-line block ×3, first 2 shown]
	v_mul_f64 v[154:155], v[120:121], s[28:29]
	v_fma_f64 v[134:135], v[102:103], s[2:3], v[134:135]
	v_add_f64 v[88:89], v[88:89], v[54:55]
	v_fma_f64 v[136:137], v[104:105], s[2:3], -v[136:137]
	v_fma_f64 v[162:163], v[102:103], s[0:1], -v[138:139]
	v_fma_f64 v[164:165], v[104:105], s[0:1], v[140:141]
	v_fma_f64 v[138:139], v[102:103], s[0:1], v[138:139]
	v_add_f64 v[44:45], v[44:45], v[98:99]
	v_fma_f64 v[140:141], v[104:105], s[0:1], -v[140:141]
	v_fma_f64 v[166:167], v[102:103], s[10:11], -v[142:143]
	v_add_f64 v[88:89], v[88:89], v[80:81]
	v_fma_f64 v[168:169], v[104:105], s[10:11], v[144:145]
	v_fma_f64 v[142:143], v[102:103], s[10:11], v[142:143]
	v_fma_f64 v[144:145], v[104:105], s[10:11], -v[144:145]
	v_fma_f64 v[170:171], v[102:103], s[22:23], -v[146:147]
	v_fma_f64 v[172:173], v[104:105], s[22:23], v[148:149]
	v_fma_f64 v[146:147], v[102:103], s[22:23], v[146:147]
	v_fma_f64 v[148:149], v[104:105], s[22:23], -v[148:149]
	v_add_f64 v[88:89], v[88:89], v[84:85]
	v_add_f64 v[44:45], v[44:45], v[90:91]
	v_fma_f64 v[90:91], v[102:103], s[26:27], -v[150:151]
	v_fma_f64 v[102:103], v[102:103], s[26:27], v[150:151]
	v_add_f64 v[130:131], v[66:67], v[130:131]
	v_add_f64 v[132:133], v[68:69], v[132:133]
	;; [unrolled: 1-line block ×21, first 2 shown]
	v_fma_f64 v[92:93], v[104:105], s[26:27], v[152:153]
	v_fma_f64 v[104:105], v[104:105], s[26:27], -v[152:153]
	v_fma_f64 v[150:151], v[126:127], s[2:3], -v[154:155]
	v_fma_f64 v[152:153], v[128:129], s[2:3], v[156:157]
	v_add_f64 v[90:91], v[66:67], v[90:91]
	v_add_f64 v[66:67], v[66:67], v[102:103]
	v_mul_f64 v[102:103], v[120:121], s[18:19]
	v_mul_f64 v[166:167], v[120:121], s[30:31]
	v_add_f64 v[92:93], v[68:69], v[92:93]
	v_add_f64 v[68:69], v[68:69], v[104:105]
	v_mul_f64 v[104:105], v[106:107], s[18:19]
	v_mul_f64 v[168:169], v[106:107], s[30:31]
	v_add_f64 v[150:151], v[150:151], v[174:175]
	v_add_f64 v[152:153], v[152:153], v[176:177]
	v_fma_f64 v[154:155], v[126:127], s[2:3], v[154:155]
	v_fma_f64 v[170:171], v[126:127], s[10:11], -v[102:103]
	v_fma_f64 v[102:103], v[126:127], s[10:11], v[102:103]
	v_fma_f64 v[174:175], v[126:127], s[26:27], -v[166:167]
	;; [unrolled: 2-line block ×4, first 2 shown]
	v_add_f64 v[130:131], v[154:155], v[130:131]
	v_add_f64 v[154:155], v[170:171], v[158:159]
	;; [unrolled: 1-line block ×4, first 2 shown]
	v_mul_f64 v[134:135], v[120:121], s[38:39]
	v_add_f64 v[88:89], v[104:105], v[88:89]
	v_add_f64 v[104:105], v[176:177], v[136:137]
	v_mul_f64 v[136:137], v[106:107], s[38:39]
	v_mul_f64 v[158:159], v[120:121], s[34:35]
	v_add_f64 v[132:133], v[156:157], v[132:133]
	v_add_f64 v[156:157], v[172:173], v[160:161]
	v_fma_f64 v[160:161], v[126:127], s[26:27], v[166:167]
	v_fma_f64 v[170:171], v[126:127], s[22:23], -v[134:135]
	v_fma_f64 v[134:135], v[126:127], s[22:23], v[134:135]
	v_fma_f64 v[166:167], v[128:129], s[26:27], -v[168:169]
	;; [unrolled: 2-line block ×3, first 2 shown]
	v_fma_f64 v[174:175], v[126:127], s[0:1], -v[158:159]
	v_mul_f64 v[168:169], v[106:107], s[34:35]
	s_mov_b32 s21, 0x3fddbe06
	v_add_f64 v[138:139], v[160:161], v[138:139]
	v_add_f64 v[134:135], v[134:135], v[142:143]
	v_mul_f64 v[120:121], v[120:121], s[20:21]
	v_mul_f64 v[106:107], v[106:107], s[20:21]
	v_add_f64 v[136:137], v[136:137], v[144:145]
	v_add_f64 v[142:143], v[174:175], v[162:163]
	v_add_f64 v[144:145], v[124:125], -v[96:97]
	v_add_f64 v[162:163], v[122:123], -v[94:95]
	v_fma_f64 v[160:161], v[128:129], s[0:1], v[168:169]
	v_add_f64 v[94:95], v[122:123], v[94:95]
	v_add_f64 v[96:97], v[124:125], v[96:97]
	;; [unrolled: 1-line block ×3, first 2 shown]
	v_fma_f64 v[158:159], v[126:127], s[0:1], v[158:159]
	v_fma_f64 v[166:167], v[126:127], s[16:17], -v[120:121]
	v_mul_f64 v[122:123], v[144:145], s[36:37]
	v_mul_f64 v[124:125], v[162:163], s[36:37]
	v_add_f64 v[160:161], v[160:161], v[164:165]
	v_fma_f64 v[164:165], v[128:129], s[0:1], -v[168:169]
	v_fma_f64 v[168:169], v[128:129], s[16:17], v[106:107]
	v_fma_f64 v[120:121], v[126:127], s[16:17], v[120:121]
	v_fma_f64 v[106:107], v[128:129], s[16:17], -v[106:107]
	v_add_f64 v[146:147], v[158:159], v[146:147]
	v_fma_f64 v[126:127], v[94:95], s[0:1], -v[122:123]
	v_fma_f64 v[128:129], v[96:97], s[0:1], v[124:125]
	v_fma_f64 v[122:123], v[94:95], s[0:1], v[122:123]
	v_add_f64 v[148:149], v[164:165], v[148:149]
	v_fma_f64 v[124:125], v[96:97], s[0:1], -v[124:125]
	v_add_f64 v[66:67], v[120:121], v[66:67]
	v_add_f64 v[68:69], v[106:107], v[68:69]
	;; [unrolled: 1-line block ×5, first 2 shown]
	v_mul_f64 v[126:127], v[144:145], s[30:31]
	v_mul_f64 v[128:129], v[162:163], s[30:31]
	;; [unrolled: 1-line block ×4, first 2 shown]
	v_add_f64 v[122:123], v[122:123], v[130:131]
	v_add_f64 v[124:125], v[124:125], v[132:133]
	;; [unrolled: 1-line block ×4, first 2 shown]
	v_fma_f64 v[158:159], v[94:95], s[26:27], -v[126:127]
	v_fma_f64 v[164:165], v[96:97], s[26:27], v[128:129]
	v_fma_f64 v[126:127], v[94:95], s[26:27], v[126:127]
	v_fma_f64 v[128:129], v[96:97], s[26:27], -v[128:129]
	v_fma_f64 v[130:131], v[94:95], s[10:11], -v[150:151]
	v_fma_f64 v[132:133], v[96:97], s[10:11], v[152:153]
	v_add_f64 v[92:93], v[168:169], v[92:93]
	v_add_f64 v[154:155], v[158:159], v[154:155]
	;; [unrolled: 1-line block ×5, first 2 shown]
	v_mul_f64 v[126:127], v[144:145], s[20:21]
	v_mul_f64 v[128:129], v[162:163], s[20:21]
	v_add_f64 v[102:103], v[130:131], v[102:103]
	v_fma_f64 v[130:131], v[94:95], s[10:11], v[150:151]
	v_mul_f64 v[150:151], v[144:145], s[28:29]
	v_add_f64 v[104:105], v[132:133], v[104:105]
	v_fma_f64 v[132:133], v[96:97], s[10:11], -v[152:153]
	v_mul_f64 v[152:153], v[162:163], s[28:29]
	v_fma_f64 v[158:159], v[94:95], s[16:17], -v[126:127]
	v_fma_f64 v[164:165], v[96:97], s[16:17], v[128:129]
	v_fma_f64 v[126:127], v[94:95], s[16:17], v[126:127]
	v_fma_f64 v[128:129], v[96:97], s[16:17], -v[128:129]
	v_add_f64 v[130:131], v[130:131], v[138:139]
	v_fma_f64 v[138:139], v[94:95], s[2:3], -v[150:151]
	v_add_f64 v[132:133], v[132:133], v[140:141]
	v_fma_f64 v[140:141], v[96:97], s[2:3], v[152:153]
	v_add_f64 v[98:99], v[158:159], v[98:99]
	v_fma_f64 v[150:151], v[94:95], s[2:3], v[150:151]
	v_add_f64 v[126:127], v[126:127], v[134:135]
	v_add_f64 v[128:129], v[128:129], v[136:137]
	v_mul_f64 v[134:135], v[144:145], s[24:25]
	v_mul_f64 v[136:137], v[162:163], s[24:25]
	v_add_f64 v[138:139], v[138:139], v[142:143]
	v_add_f64 v[142:143], v[72:73], -v[84:85]
	v_add_f64 v[144:145], v[70:71], -v[82:83]
	v_add_f64 v[140:141], v[140:141], v[160:161]
	v_fma_f64 v[152:153], v[96:97], s[2:3], -v[152:153]
	v_add_f64 v[70:71], v[70:71], v[82:83]
	v_fma_f64 v[158:159], v[94:95], s[22:23], -v[134:135]
	v_fma_f64 v[160:161], v[96:97], s[22:23], v[136:137]
	v_add_f64 v[72:73], v[72:73], v[84:85]
	v_mul_f64 v[82:83], v[142:143], s[18:19]
	v_mul_f64 v[84:85], v[144:145], s[18:19]
	v_fma_f64 v[94:95], v[94:95], s[22:23], v[134:135]
	v_fma_f64 v[96:97], v[96:97], s[22:23], -v[136:137]
	v_add_f64 v[134:135], v[150:151], v[146:147]
	v_add_f64 v[136:137], v[152:153], v[148:149]
	;; [unrolled: 1-line block ×4, first 2 shown]
	v_fma_f64 v[146:147], v[70:71], s[10:11], -v[82:83]
	v_fma_f64 v[148:149], v[72:73], s[10:11], v[84:85]
	v_add_f64 v[66:67], v[94:95], v[66:67]
	v_add_f64 v[68:69], v[96:97], v[68:69]
	v_mul_f64 v[94:95], v[142:143], s[38:39]
	v_mul_f64 v[96:97], v[144:145], s[38:39]
	v_fma_f64 v[82:83], v[70:71], s[10:11], v[82:83]
	v_fma_f64 v[84:85], v[72:73], s[10:11], -v[84:85]
	v_add_f64 v[106:107], v[146:147], v[106:107]
	v_add_f64 v[120:121], v[148:149], v[120:121]
	v_mul_f64 v[146:147], v[142:143], s[20:21]
	v_mul_f64 v[148:149], v[144:145], s[20:21]
	v_fma_f64 v[150:151], v[70:71], s[22:23], -v[94:95]
	v_fma_f64 v[152:153], v[72:73], s[22:23], v[96:97]
	v_add_f64 v[82:83], v[82:83], v[122:123]
	v_add_f64 v[84:85], v[84:85], v[124:125]
	v_fma_f64 v[94:95], v[70:71], s[22:23], v[94:95]
	v_fma_f64 v[96:97], v[72:73], s[22:23], -v[96:97]
	v_fma_f64 v[122:123], v[70:71], s[16:17], -v[146:147]
	v_fma_f64 v[124:125], v[72:73], s[16:17], v[148:149]
	v_add_f64 v[150:151], v[150:151], v[154:155]
	v_add_f64 v[152:153], v[152:153], v[156:157]
	v_mul_f64 v[154:155], v[142:143], s[36:37]
	v_mul_f64 v[156:157], v[144:145], s[36:37]
	s_mov_b32 s39, 0x3fcea1e5
	s_mov_b32 s38, s30
	v_add_f64 v[86:87], v[94:95], v[86:87]
	v_add_f64 v[88:89], v[96:97], v[88:89]
	;; [unrolled: 1-line block ×4, first 2 shown]
	v_fma_f64 v[102:103], v[70:71], s[16:17], v[146:147]
	v_fma_f64 v[104:105], v[72:73], s[16:17], -v[148:149]
	v_fma_f64 v[122:123], v[70:71], s[0:1], -v[154:155]
	v_fma_f64 v[124:125], v[72:73], s[0:1], v[156:157]
	v_mul_f64 v[146:147], v[142:143], s[38:39]
	v_mul_f64 v[148:149], v[144:145], s[38:39]
	s_mov_b32 s37, 0x3fea55e2
	s_mov_b32 s36, s28
	v_add_f64 v[102:103], v[102:103], v[130:131]
	v_add_f64 v[104:105], v[104:105], v[132:133]
	;; [unrolled: 1-line block ×4, first 2 shown]
	v_fma_f64 v[122:123], v[70:71], s[26:27], -v[146:147]
	v_fma_f64 v[124:125], v[72:73], s[26:27], v[148:149]
	v_mul_f64 v[130:131], v[142:143], s[36:37]
	v_mul_f64 v[132:133], v[144:145], s[36:37]
	v_fma_f64 v[142:143], v[70:71], s[26:27], v[146:147]
	v_fma_f64 v[144:145], v[72:73], s[26:27], -v[148:149]
	v_fma_f64 v[154:155], v[70:71], s[0:1], v[154:155]
	v_fma_f64 v[156:157], v[72:73], s[0:1], -v[156:157]
	v_add_f64 v[122:123], v[122:123], v[138:139]
	v_add_f64 v[124:125], v[124:125], v[140:141]
	v_add_f64 v[138:139], v[76:77], -v[80:81]
	v_add_f64 v[140:141], v[74:75], -v[78:79]
	v_add_f64 v[74:75], v[74:75], v[78:79]
	v_add_f64 v[76:77], v[76:77], v[80:81]
	v_fma_f64 v[146:147], v[70:71], s[2:3], -v[130:131]
	v_fma_f64 v[148:149], v[72:73], s[2:3], v[132:133]
	v_fma_f64 v[70:71], v[70:71], s[2:3], v[130:131]
	v_fma_f64 v[72:73], v[72:73], s[2:3], -v[132:133]
	v_mul_f64 v[78:79], v[138:139], s[24:25]
	v_mul_f64 v[80:81], v[140:141], s[24:25]
	v_add_f64 v[130:131], v[142:143], v[134:135]
	v_add_f64 v[132:133], v[144:145], v[136:137]
	;; [unrolled: 1-line block ×6, first 2 shown]
	v_fma_f64 v[134:135], v[74:75], s[22:23], -v[78:79]
	v_fma_f64 v[136:137], v[76:77], s[22:23], v[80:81]
	v_mul_f64 v[70:71], v[138:139], s[34:35]
	v_mul_f64 v[72:73], v[140:141], s[34:35]
	v_fma_f64 v[78:79], v[74:75], s[22:23], v[78:79]
	v_fma_f64 v[80:81], v[76:77], s[22:23], -v[80:81]
	v_add_f64 v[92:93], v[148:149], v[92:93]
	v_mul_f64 v[146:147], v[138:139], s[38:39]
	v_add_f64 v[106:107], v[134:135], v[106:107]
	v_add_f64 v[120:121], v[136:137], v[120:121]
	v_mul_f64 v[134:135], v[138:139], s[28:29]
	v_mul_f64 v[136:137], v[140:141], s[28:29]
	v_fma_f64 v[142:143], v[74:75], s[0:1], -v[70:71]
	v_fma_f64 v[144:145], v[76:77], s[0:1], v[72:73]
	v_add_f64 v[78:79], v[78:79], v[82:83]
	v_add_f64 v[80:81], v[80:81], v[84:85]
	v_fma_f64 v[70:71], v[74:75], s[0:1], v[70:71]
	v_fma_f64 v[72:73], v[76:77], s[0:1], -v[72:73]
	v_fma_f64 v[82:83], v[74:75], s[2:3], -v[134:135]
	v_fma_f64 v[84:85], v[76:77], s[2:3], v[136:137]
	v_mul_f64 v[148:149], v[140:141], s[38:39]
	v_add_f64 v[126:127], v[154:155], v[126:127]
	v_add_f64 v[128:129], v[156:157], v[128:129]
	;; [unrolled: 1-line block ×7, first 2 shown]
	v_fma_f64 v[86:87], v[74:75], s[2:3], v[134:135]
	v_fma_f64 v[88:89], v[76:77], s[2:3], -v[136:137]
	v_fma_f64 v[94:95], v[74:75], s[26:27], -v[146:147]
	v_fma_f64 v[96:97], v[76:77], s[26:27], v[148:149]
	v_mul_f64 v[134:135], v[138:139], s[20:21]
	v_mul_f64 v[136:137], v[140:141], s[20:21]
	v_fma_f64 v[146:147], v[74:75], s[26:27], v[146:147]
	v_fma_f64 v[148:149], v[76:77], s[26:27], -v[148:149]
	v_add_f64 v[86:87], v[86:87], v[102:103]
	v_add_f64 v[88:89], v[88:89], v[104:105]
	;; [unrolled: 1-line block ×4, first 2 shown]
	v_fma_f64 v[98:99], v[74:75], s[16:17], -v[134:135]
	v_fma_f64 v[100:101], v[76:77], s[16:17], v[136:137]
	v_add_f64 v[102:103], v[146:147], v[126:127]
	v_add_f64 v[104:105], v[148:149], v[128:129]
	v_fma_f64 v[126:127], v[74:75], s[16:17], v[134:135]
	v_fma_f64 v[128:129], v[76:77], s[16:17], -v[136:137]
	v_mul_f64 v[134:135], v[138:139], s[18:19]
	v_mul_f64 v[136:137], v[140:141], s[18:19]
	v_add_f64 v[140:141], v[50:51], -v[54:55]
	v_add_f64 v[146:147], v[48:49], -v[52:53]
	v_add_f64 v[144:145], v[144:145], v[152:153]
	v_add_f64 v[98:99], v[98:99], v[122:123]
	;; [unrolled: 1-line block ×4, first 2 shown]
	v_fma_f64 v[122:123], v[74:75], s[10:11], -v[134:135]
	v_fma_f64 v[124:125], v[76:77], s[10:11], v[136:137]
	v_add_f64 v[132:133], v[48:49], v[52:53]
	v_add_f64 v[152:153], v[50:51], v[54:55]
	v_mul_f64 v[48:49], v[140:141], s[30:31]
	v_mul_f64 v[50:51], v[146:147], s[30:31]
	v_fma_f64 v[52:53], v[74:75], s[10:11], v[134:135]
	v_fma_f64 v[54:55], v[76:77], s[10:11], -v[136:137]
	v_add_f64 v[90:91], v[122:123], v[90:91]
	v_add_f64 v[92:93], v[124:125], v[92:93]
	v_mul_f64 v[74:75], v[140:141], s[20:21]
	v_mul_f64 v[76:77], v[146:147], s[20:21]
	v_fma_f64 v[122:123], v[132:133], s[26:27], -v[48:49]
	v_fma_f64 v[124:125], v[152:153], s[26:27], v[50:51]
	v_add_f64 v[154:155], v[52:53], v[66:67]
	v_add_f64 v[156:157], v[54:55], v[68:69]
	v_fma_f64 v[52:53], v[132:133], s[26:27], v[48:49]
	v_fma_f64 v[54:55], v[152:153], s[26:27], -v[50:51]
	v_fma_f64 v[66:67], v[132:133], s[16:17], -v[74:75]
	v_fma_f64 v[68:69], v[152:153], s[16:17], v[76:77]
	v_add_f64 v[48:49], v[122:123], v[106:107]
	v_add_f64 v[50:51], v[124:125], v[120:121]
	v_mul_f64 v[106:107], v[140:141], s[24:25]
	v_mul_f64 v[124:125], v[146:147], s[24:25]
	v_add_f64 v[120:121], v[52:53], v[78:79]
	v_add_f64 v[122:123], v[54:55], v[80:81]
	;; [unrolled: 1-line block ×4, first 2 shown]
	v_fma_f64 v[66:67], v[132:133], s[16:17], v[74:75]
	v_fma_f64 v[68:69], v[152:153], s[16:17], -v[76:77]
	v_fma_f64 v[74:75], v[132:133], s[22:23], -v[106:107]
	v_fma_f64 v[76:77], v[152:153], s[22:23], v[124:125]
	v_mul_f64 v[78:79], v[140:141], s[36:37]
	v_mul_f64 v[80:81], v[146:147], s[36:37]
	v_add_f64 v[148:149], v[126:127], v[130:131]
	v_fma_f64 v[106:107], v[132:133], s[22:23], v[106:107]
	v_add_f64 v[136:137], v[66:67], v[70:71]
	v_add_f64 v[138:139], v[68:69], v[72:73]
	;; [unrolled: 1-line block ×4, first 2 shown]
	v_fma_f64 v[70:71], v[132:133], s[2:3], -v[78:79]
	v_fma_f64 v[72:73], v[152:153], s[2:3], v[80:81]
	v_fma_f64 v[74:75], v[132:133], s[2:3], v[78:79]
	v_fma_f64 v[76:77], v[152:153], s[2:3], -v[80:81]
	v_mul_f64 v[78:79], v[140:141], s[18:19]
	v_mul_f64 v[80:81], v[146:147], s[18:19]
	v_fma_f64 v[126:127], v[152:153], s[22:23], -v[124:125]
	v_mul_f64 v[82:83], v[140:141], s[34:35]
	v_mul_f64 v[84:85], v[146:147], s[34:35]
	v_add_f64 v[124:125], v[106:107], v[86:87]
	v_add_f64 v[128:129], v[74:75], v[102:103]
	;; [unrolled: 1-line block ×3, first 2 shown]
	v_fma_f64 v[74:75], v[132:133], s[10:11], -v[78:79]
	v_fma_f64 v[76:77], v[152:153], s[10:11], v[80:81]
	v_add_f64 v[126:127], v[126:127], v[88:89]
	v_fma_f64 v[78:79], v[132:133], s[10:11], v[78:79]
	v_fma_f64 v[80:81], v[152:153], s[10:11], -v[80:81]
	v_fma_f64 v[86:87], v[132:133], s[0:1], -v[82:83]
	v_fma_f64 v[88:89], v[152:153], s[0:1], v[84:85]
	v_fma_f64 v[82:83], v[132:133], s[0:1], v[82:83]
	v_fma_f64 v[84:85], v[152:153], s[0:1], -v[84:85]
	v_add_f64 v[70:71], v[70:71], v[94:95]
	v_add_f64 v[72:73], v[72:73], v[96:97]
	v_add_f64 v[74:75], v[74:75], v[98:99]
	v_add_f64 v[76:77], v[76:77], v[100:101]
	v_add_f64 v[132:133], v[78:79], v[148:149]
	v_add_f64 v[134:135], v[80:81], v[150:151]
	v_add_f64 v[78:79], v[86:87], v[90:91]
	v_add_f64 v[80:81], v[88:89], v[92:93]
	v_add_f64 v[82:83], v[82:83], v[154:155]
	v_add_f64 v[84:85], v[84:85], v[156:157]
	ds_write_b128 v202, v[44:47]
	ds_write_b128 v202, v[48:51] offset:272
	ds_write_b128 v202, v[52:55] offset:544
	;; [unrolled: 1-line block ×12, first 2 shown]
	s_waitcnt lgkmcnt(0)
	s_barrier
	ds_read_b128 v[140:143], v216
	ds_read_b128 v[168:171], v216 offset:3536
	ds_read_b128 v[164:167], v216 offset:7072
	;; [unrolled: 1-line block ×7, first 2 shown]
	s_movk_i32 s0, 0x55
	v_cmp_gt_u16_e64 s[0:1], s0, v255
	s_and_saveexec_b64 s[2:3], s[0:1]
	s_cbranch_execz .LBB0_9
; %bb.8:
	ds_read_b128 v[132:135], v216 offset:2176
	ds_read_b128 v[128:131], v216 offset:5712
	;; [unrolled: 1-line block ×8, first 2 shown]
.LBB0_9:
	s_or_b64 exec, exec, s[2:3]
	v_add_u32_e32 v0, 0x88, v255
	v_add_u32_e32 v1, 0xffffffab, v255
	v_cndmask_b32_e64 v0, v1, v0, s[0:1]
	v_mul_hi_i32_i24_e32 v1, 0x70, v0
	v_mul_i32_i24_e32 v0, 0x70, v0
	v_mov_b32_e32 v2, s9
	v_add_co_u32_e64 v44, s[2:3], s8, v0
	v_addc_co_u32_e64 v45, s[2:3], v2, v1, s[2:3]
	global_load_dwordx4 v[8:11], v[44:45], off offset:3280
	global_load_dwordx4 v[0:3], v[44:45], off offset:3296
	;; [unrolled: 1-line block ×4, first 2 shown]
	v_mov_b32_e32 v47, s9
	s_movk_i32 s2, 0x70
	v_mov_b32_e32 v46, s8
	v_mad_u64_u32 v[46:47], s[2:3], v255, s2, v[46:47]
	global_load_dwordx4 v[24:27], v[44:45], off offset:3344
	global_load_dwordx4 v[12:15], v[44:45], off offset:3360
	;; [unrolled: 1-line block ×10, first 2 shown]
	s_mov_b32 s2, 0x667f3bcd
	s_mov_b32 s3, 0xbfe6a09e
	;; [unrolled: 1-line block ×4, first 2 shown]
	s_waitcnt vmcnt(9) lgkmcnt(1)
	v_mul_f64 v[68:69], v[114:115], v[26:27]
	v_mul_f64 v[44:45], v[126:127], v[10:11]
	;; [unrolled: 1-line block ×5, first 2 shown]
	s_waitcnt vmcnt(8) lgkmcnt(0)
	v_mul_f64 v[72:73], v[110:111], v[14:15]
	v_mul_f64 v[46:47], v[124:125], v[10:11]
	;; [unrolled: 1-line block ×7, first 2 shown]
	s_waitcnt vmcnt(1)
	v_mul_f64 v[192:193], v[146:147], v[82:83]
	s_waitcnt vmcnt(0)
	v_mul_f64 v[196:197], v[130:131], v[42:43]
	v_fma_f64 v[44:45], v[124:125], v[8:9], -v[44:45]
	buffer_store_dword v8, off, s[64:67], 0 offset:144 ; 4-byte Folded Spill
	s_nop 0
	buffer_store_dword v9, off, s[64:67], 0 offset:148 ; 4-byte Folded Spill
	buffer_store_dword v10, off, s[64:67], 0 offset:152 ; 4-byte Folded Spill
	buffer_store_dword v11, off, s[64:67], 0 offset:156 ; 4-byte Folded Spill
	v_fma_f64 v[48:49], v[136:137], v[0:1], -v[48:49]
	buffer_store_dword v0, off, s[64:67], 0 offset:112 ; 4-byte Folded Spill
	s_nop 0
	buffer_store_dword v1, off, s[64:67], 0 offset:116 ; 4-byte Folded Spill
	buffer_store_dword v2, off, s[64:67], 0 offset:120 ; 4-byte Folded Spill
	buffer_store_dword v3, off, s[64:67], 0 offset:124 ; 4-byte Folded Spill
	;; [unrolled: 6-line block ×6, first 2 shown]
	v_mul_f64 v[194:195], v[144:145], v[82:83]
	v_mul_f64 v[198:199], v[128:129], v[42:43]
	v_fma_f64 v[136:137], v[144:145], v[80:81], -v[192:193]
	v_fma_f64 v[144:145], v[128:129], v[40:41], -v[196:197]
	buffer_store_dword v40, off, s[64:67], 0 offset:208 ; 4-byte Folded Spill
	s_nop 0
	buffer_store_dword v41, off, s[64:67], 0 offset:212 ; 4-byte Folded Spill
	buffer_store_dword v42, off, s[64:67], 0 offset:216 ; 4-byte Folded Spill
	;; [unrolled: 1-line block ×3, first 2 shown]
	v_mul_f64 v[76:77], v[170:171], v[106:107]
	v_mul_f64 v[78:79], v[168:169], v[106:107]
	;; [unrolled: 1-line block ×12, first 2 shown]
	v_fma_f64 v[76:77], v[168:169], v[104:105], -v[76:77]
	v_fma_f64 v[78:79], v[170:171], v[104:105], v[78:79]
	v_fma_f64 v[108:109], v[164:165], v[100:101], -v[172:173]
	v_fma_f64 v[112:113], v[160:161], v[96:97], -v[176:177]
	;; [unrolled: 1-line block ×5, first 2 shown]
	v_add_f64 v[52:53], v[132:133], -v[52:53]
	v_add_f64 v[68:69], v[44:45], -v[68:69]
	;; [unrolled: 1-line block ×8, first 2 shown]
	v_fma_f64 v[44:45], v[44:45], 2.0, -v[68:69]
	v_fma_f64 v[144:145], v[144:145], 2.0, -v[64:65]
	;; [unrolled: 1-line block ×7, first 2 shown]
	v_add_f64 v[48:49], v[144:145], -v[48:49]
	v_add_f64 v[112:113], v[76:77], -v[112:113]
	;; [unrolled: 1-line block ×3, first 2 shown]
	v_fma_f64 v[144:145], v[144:145], 2.0, -v[48:49]
	v_fma_f64 v[76:77], v[76:77], 2.0, -v[112:113]
	v_fma_f64 v[46:47], v[126:127], v[8:9], v[46:47]
	v_fma_f64 v[126:127], v[150:151], v[92:93], v[190:191]
	;; [unrolled: 1-line block ×12, first 2 shown]
	v_add_f64 v[54:55], v[134:135], -v[54:55]
	v_add_f64 v[122:123], v[78:79], -v[122:123]
	v_fma_f64 v[146:147], v[130:131], v[40:41], v[198:199]
	v_add_f64 v[118:119], v[142:143], -v[118:119]
	v_add_f64 v[130:131], v[114:115], -v[138:139]
	;; [unrolled: 1-line block ×5, first 2 shown]
	v_fma_f64 v[78:79], v[78:79], 2.0, -v[122:123]
	v_add_f64 v[150:151], v[122:123], v[128:129]
	v_add_f64 v[66:67], v[146:147], -v[66:67]
	v_fma_f64 v[138:139], v[142:143], 2.0, -v[118:119]
	v_fma_f64 v[114:115], v[114:115], 2.0, -v[130:131]
	v_add_f64 v[142:143], v[118:119], v[124:125]
	v_fma_f64 v[110:111], v[110:111], 2.0, -v[126:127]
	v_add_f64 v[140:141], v[116:117], -v[126:127]
	v_add_f64 v[148:149], v[120:121], -v[130:131]
	v_fma_f64 v[46:47], v[46:47], 2.0, -v[70:71]
	v_fma_f64 v[146:147], v[146:147], 2.0, -v[66:67]
	v_add_f64 v[70:71], v[52:53], -v[70:71]
	v_add_f64 v[114:115], v[78:79], -v[114:115]
	v_fma_f64 v[154:155], v[118:119], 2.0, -v[142:143]
	v_add_f64 v[110:111], v[138:139], -v[110:111]
	v_fma_f64 v[152:153], v[116:117], 2.0, -v[140:141]
	v_fma_f64 v[116:117], v[120:121], 2.0, -v[148:149]
	;; [unrolled: 1-line block ×6, first 2 shown]
	v_add_f64 v[124:125], v[108:109], -v[114:115]
	v_fma_f64 v[122:123], v[138:139], 2.0, -v[110:111]
	v_add_f64 v[126:127], v[110:111], v[112:113]
	v_fma_f64 v[138:139], v[134:135], 2.0, -v[54:55]
	v_add_f64 v[68:69], v[54:55], v[68:69]
	v_add_f64 v[112:113], v[120:121], -v[76:77]
	v_fma_f64 v[76:77], v[148:149], s[8:9], v[140:141]
	v_fma_f64 v[50:51], v[50:51], 2.0, -v[74:75]
	v_add_f64 v[74:75], v[64:65], -v[74:75]
	v_add_f64 v[114:115], v[122:123], -v[78:79]
	v_fma_f64 v[78:79], v[150:151], s[8:9], v[142:143]
	v_add_f64 v[72:73], v[66:67], v[72:73]
	v_fma_f64 v[128:129], v[116:117], s[2:3], v[152:153]
	v_fma_f64 v[130:131], v[118:119], s[2:3], v[154:155]
	v_add_f64 v[44:45], v[136:137], -v[44:45]
	v_add_f64 v[46:47], v[138:139], -v[46:47]
	v_fma_f64 v[52:53], v[52:53], 2.0, -v[70:71]
	v_fma_f64 v[54:55], v[54:55], 2.0, -v[68:69]
	v_add_f64 v[50:51], v[146:147], -v[50:51]
	v_fma_f64 v[64:65], v[64:65], 2.0, -v[74:75]
	v_fma_f64 v[66:67], v[66:67], 2.0, -v[72:73]
	v_fma_f64 v[132:133], v[150:151], s[2:3], v[76:77]
	v_fma_f64 v[134:135], v[148:149], s[8:9], v[78:79]
	;; [unrolled: 1-line block ×4, first 2 shown]
	v_fma_f64 v[76:77], v[136:137], 2.0, -v[44:45]
	v_fma_f64 v[78:79], v[138:139], 2.0, -v[46:47]
	;; [unrolled: 1-line block ×3, first 2 shown]
	v_fma_f64 v[148:149], v[64:65], s[2:3], v[52:53]
	v_fma_f64 v[150:151], v[66:67], s[2:3], v[54:55]
	v_fma_f64 v[136:137], v[140:141], 2.0, -v[132:133]
	v_fma_f64 v[138:139], v[142:143], 2.0, -v[134:135]
	v_fma_f64 v[140:141], v[74:75], s[8:9], v[70:71]
	v_fma_f64 v[142:143], v[72:73], s[8:9], v[68:69]
	v_fma_f64 v[116:117], v[108:109], 2.0, -v[124:125]
	v_fma_f64 v[118:119], v[110:111], 2.0, -v[126:127]
	;; [unrolled: 1-line block ×6, first 2 shown]
	v_add_f64 v[144:145], v[76:77], -v[144:145]
	v_add_f64 v[146:147], v[78:79], -v[146:147]
	v_fma_f64 v[152:153], v[66:67], s[2:3], v[148:149]
	v_fma_f64 v[154:155], v[64:65], s[8:9], v[150:151]
	v_add_f64 v[160:161], v[44:45], -v[50:51]
	v_add_f64 v[162:163], v[46:47], v[48:49]
	v_fma_f64 v[168:169], v[72:73], s[2:3], v[140:141]
	v_fma_f64 v[170:171], v[74:75], s[8:9], v[142:143]
	v_fma_f64 v[140:141], v[76:77], 2.0, -v[144:145]
	v_fma_f64 v[142:143], v[78:79], 2.0, -v[146:147]
	;; [unrolled: 1-line block ×8, first 2 shown]
	ds_write_b128 v216, v[108:111]
	ds_write_b128 v216, v[120:123] offset:3536
	ds_write_b128 v216, v[116:119] offset:7072
	ds_write_b128 v216, v[136:139] offset:10608
	ds_write_b128 v216, v[112:115] offset:14144
	ds_write_b128 v216, v[128:131] offset:17680
	ds_write_b128 v216, v[124:127] offset:21216
	ds_write_b128 v216, v[132:135] offset:24752
	s_and_saveexec_b64 s[2:3], s[0:1]
	s_cbranch_execz .LBB0_11
; %bb.10:
	ds_write_b128 v216, v[140:143] offset:2176
	ds_write_b128 v216, v[148:151] offset:5712
	;; [unrolled: 1-line block ×8, first 2 shown]
.LBB0_11:
	s_or_b64 exec, exec, s[2:3]
	s_waitcnt vmcnt(0) lgkmcnt(0)
	s_barrier
	s_and_saveexec_b64 s[8:9], vcc
	s_cbranch_execz .LBB0_13
; %bb.12:
	s_add_u32 s10, s12, 0x6e80
	s_addc_u32 s11, s13, 0
	ds_read_b128 v[46:49], v216
	global_load_dwordx4 v[50:53], v216, s[10:11]
	v_add_co_u32_e64 v44, s[2:3], s10, v216
	v_mov_b32_e32 v0, s11
	v_addc_co_u32_e64 v45, s[2:3], 0, v0, s[2:3]
	s_movk_i32 s2, 0x1000
	v_or_b32_e32 v0, 0x6800, v216
	s_waitcnt vmcnt(0) lgkmcnt(0)
	v_mul_f64 v[54:55], v[48:49], v[52:53]
	v_fma_f64 v[64:65], v[46:47], v[50:51], -v[54:55]
	v_mul_f64 v[46:47], v[46:47], v[52:53]
	v_fma_f64 v[66:67], v[48:49], v[50:51], v[46:47]
	ds_read_b128 v[46:49], v216 offset:1664
	global_load_dwordx4 v[50:53], v216, s[10:11] offset:1664
	ds_write_b128 v216, v[64:67]
	s_waitcnt vmcnt(0) lgkmcnt(1)
	v_mul_f64 v[54:55], v[48:49], v[52:53]
	v_fma_f64 v[64:65], v[46:47], v[50:51], -v[54:55]
	v_mul_f64 v[46:47], v[46:47], v[52:53]
	v_fma_f64 v[66:67], v[48:49], v[50:51], v[46:47]
	ds_read_b128 v[46:49], v216 offset:3328
	global_load_dwordx4 v[50:53], v216, s[10:11] offset:3328
	ds_write_b128 v216, v[64:67] offset:1664
	s_waitcnt vmcnt(0) lgkmcnt(1)
	v_mul_f64 v[54:55], v[48:49], v[52:53]
	v_fma_f64 v[64:65], v[46:47], v[50:51], -v[54:55]
	v_mul_f64 v[46:47], v[46:47], v[52:53]
	v_add_co_u32_e64 v54, s[2:3], s2, v44
	v_addc_co_u32_e64 v55, s[2:3], 0, v45, s[2:3]
	s_movk_i32 s2, 0x2000
	v_fma_f64 v[66:67], v[48:49], v[50:51], v[46:47]
	global_load_dwordx4 v[50:53], v[54:55], off offset:896
	ds_read_b128 v[46:49], v216 offset:4992
	ds_write_b128 v216, v[64:67] offset:3328
	s_waitcnt vmcnt(0) lgkmcnt(1)
	v_mul_f64 v[64:65], v[48:49], v[52:53]
	v_fma_f64 v[64:65], v[46:47], v[50:51], -v[64:65]
	v_mul_f64 v[46:47], v[46:47], v[52:53]
	v_fma_f64 v[66:67], v[48:49], v[50:51], v[46:47]
	global_load_dwordx4 v[50:53], v[54:55], off offset:2560
	ds_read_b128 v[46:49], v216 offset:6656
	ds_write_b128 v216, v[64:67] offset:4992
	s_waitcnt vmcnt(0) lgkmcnt(1)
	v_mul_f64 v[54:55], v[48:49], v[52:53]
	v_fma_f64 v[64:65], v[46:47], v[50:51], -v[54:55]
	v_mul_f64 v[46:47], v[46:47], v[52:53]
	v_add_co_u32_e64 v54, s[2:3], s2, v44
	v_addc_co_u32_e64 v55, s[2:3], 0, v45, s[2:3]
	s_movk_i32 s2, 0x3000
	v_fma_f64 v[66:67], v[48:49], v[50:51], v[46:47]
	global_load_dwordx4 v[50:53], v[54:55], off offset:128
	ds_read_b128 v[46:49], v216 offset:8320
	ds_write_b128 v216, v[64:67] offset:6656
	s_waitcnt vmcnt(0) lgkmcnt(1)
	v_mul_f64 v[64:65], v[48:49], v[52:53]
	v_fma_f64 v[64:65], v[46:47], v[50:51], -v[64:65]
	v_mul_f64 v[46:47], v[46:47], v[52:53]
	v_fma_f64 v[66:67], v[48:49], v[50:51], v[46:47]
	global_load_dwordx4 v[50:53], v[54:55], off offset:1792
	ds_read_b128 v[46:49], v216 offset:9984
	ds_write_b128 v216, v[64:67] offset:8320
	s_waitcnt vmcnt(0) lgkmcnt(1)
	v_mul_f64 v[64:65], v[48:49], v[52:53]
	v_fma_f64 v[64:65], v[46:47], v[50:51], -v[64:65]
	v_mul_f64 v[46:47], v[46:47], v[52:53]
	;; [unrolled: 8-line block ×3, first 2 shown]
	v_add_co_u32_e64 v54, s[2:3], s2, v44
	v_addc_co_u32_e64 v55, s[2:3], 0, v45, s[2:3]
	s_movk_i32 s2, 0x4000
	v_fma_f64 v[66:67], v[48:49], v[50:51], v[46:47]
	global_load_dwordx4 v[50:53], v[54:55], off offset:1024
	ds_read_b128 v[46:49], v216 offset:13312
	ds_write_b128 v216, v[64:67] offset:11648
	s_waitcnt vmcnt(0) lgkmcnt(1)
	v_mul_f64 v[64:65], v[48:49], v[52:53]
	v_fma_f64 v[64:65], v[46:47], v[50:51], -v[64:65]
	v_mul_f64 v[46:47], v[46:47], v[52:53]
	v_fma_f64 v[66:67], v[48:49], v[50:51], v[46:47]
	global_load_dwordx4 v[50:53], v[54:55], off offset:2688
	ds_read_b128 v[46:49], v216 offset:14976
	ds_write_b128 v216, v[64:67] offset:13312
	s_waitcnt vmcnt(0) lgkmcnt(1)
	v_mul_f64 v[54:55], v[48:49], v[52:53]
	v_fma_f64 v[64:65], v[46:47], v[50:51], -v[54:55]
	v_mul_f64 v[46:47], v[46:47], v[52:53]
	v_add_co_u32_e64 v54, s[2:3], s2, v44
	v_addc_co_u32_e64 v55, s[2:3], 0, v45, s[2:3]
	s_movk_i32 s2, 0x5000
	v_fma_f64 v[66:67], v[48:49], v[50:51], v[46:47]
	global_load_dwordx4 v[50:53], v[54:55], off offset:256
	ds_read_b128 v[46:49], v216 offset:16640
	ds_write_b128 v216, v[64:67] offset:14976
	s_waitcnt vmcnt(0) lgkmcnt(1)
	v_mul_f64 v[64:65], v[48:49], v[52:53]
	v_fma_f64 v[64:65], v[46:47], v[50:51], -v[64:65]
	v_mul_f64 v[46:47], v[46:47], v[52:53]
	v_fma_f64 v[66:67], v[48:49], v[50:51], v[46:47]
	global_load_dwordx4 v[50:53], v[54:55], off offset:1920
	ds_read_b128 v[46:49], v216 offset:18304
	ds_write_b128 v216, v[64:67] offset:16640
	s_waitcnt vmcnt(0) lgkmcnt(1)
	v_mul_f64 v[64:65], v[48:49], v[52:53]
	v_fma_f64 v[64:65], v[46:47], v[50:51], -v[64:65]
	v_mul_f64 v[46:47], v[46:47], v[52:53]
	;; [unrolled: 8-line block ×3, first 2 shown]
	v_add_co_u32_e64 v54, s[2:3], s2, v44
	v_addc_co_u32_e64 v55, s[2:3], 0, v45, s[2:3]
	s_movk_i32 s2, 0x6000
	v_add_co_u32_e64 v44, s[2:3], s2, v44
	v_fma_f64 v[66:67], v[48:49], v[50:51], v[46:47]
	global_load_dwordx4 v[50:53], v[54:55], off offset:1152
	ds_read_b128 v[46:49], v216 offset:21632
	v_addc_co_u32_e64 v45, s[2:3], 0, v45, s[2:3]
	ds_write_b128 v216, v[64:67] offset:19968
	s_waitcnt vmcnt(0) lgkmcnt(1)
	v_mul_f64 v[64:65], v[48:49], v[52:53]
	v_fma_f64 v[64:65], v[46:47], v[50:51], -v[64:65]
	v_mul_f64 v[46:47], v[46:47], v[52:53]
	v_fma_f64 v[66:67], v[48:49], v[50:51], v[46:47]
	global_load_dwordx4 v[50:53], v[54:55], off offset:2816
	ds_read_b128 v[46:49], v216 offset:23296
	ds_write_b128 v216, v[64:67] offset:21632
	s_waitcnt vmcnt(0) lgkmcnt(1)
	v_mul_f64 v[54:55], v[48:49], v[52:53]
	v_fma_f64 v[64:65], v[46:47], v[50:51], -v[54:55]
	v_mul_f64 v[46:47], v[46:47], v[52:53]
	v_fma_f64 v[66:67], v[48:49], v[50:51], v[46:47]
	global_load_dwordx4 v[50:53], v[44:45], off offset:384
	ds_read_b128 v[46:49], v216 offset:24960
	ds_write_b128 v216, v[64:67] offset:23296
	s_waitcnt vmcnt(0) lgkmcnt(1)
	v_mul_f64 v[44:45], v[48:49], v[52:53]
	v_fma_f64 v[44:45], v[46:47], v[50:51], -v[44:45]
	v_mul_f64 v[46:47], v[46:47], v[52:53]
	v_fma_f64 v[46:47], v[48:49], v[50:51], v[46:47]
	global_load_dwordx4 v[48:51], v0, s[10:11]
	ds_write_b128 v216, v[44:47] offset:24960
	ds_read_b128 v[44:47], v216 offset:26624
	s_waitcnt vmcnt(0) lgkmcnt(0)
	v_mul_f64 v[52:53], v[46:47], v[50:51]
	v_fma_f64 v[52:53], v[44:45], v[48:49], -v[52:53]
	v_mul_f64 v[44:45], v[44:45], v[50:51]
	v_fma_f64 v[54:55], v[46:47], v[48:49], v[44:45]
	ds_write_b128 v216, v[52:55] offset:26624
.LBB0_13:
	s_or_b64 exec, exec, s[8:9]
	s_waitcnt lgkmcnt(0)
	s_barrier
	s_and_saveexec_b64 s[2:3], vcc
	s_cbranch_execz .LBB0_15
; %bb.14:
	ds_read_b128 v[108:111], v216
	ds_read_b128 v[120:123], v216 offset:1664
	ds_read_b128 v[116:119], v216 offset:3328
	;; [unrolled: 1-line block ×16, first 2 shown]
.LBB0_15:
	s_or_b64 exec, exec, s[2:3]
	s_waitcnt lgkmcnt(0)
	v_add_f64 v[219:220], v[209:210], v[122:123]
	s_mov_b32 s2, 0x75d4884
	s_mov_b32 s3, 0x3fe7a5f6
	v_add_f64 v[225:226], v[118:119], v[170:171]
	s_mov_b32 s18, 0x3259b75e
	s_mov_b32 s19, 0x3fb79ee6
	v_add_f64 v[221:222], v[122:123], -v[209:210]
	s_mov_b32 s8, 0x2a9d6da3
	v_mul_f64 v[2:3], v[219:220], s[2:3]
	s_mov_b32 s9, 0xbfe58eea
	v_add_f64 v[217:218], v[207:208], v[120:121]
	v_mul_f64 v[4:5], v[225:226], s[18:19]
	v_add_f64 v[227:228], v[120:121], -v[207:208]
	v_add_f64 v[229:230], v[118:119], -v[170:171]
	v_mul_f64 v[0:1], v[221:222], s[8:9]
	v_add_f64 v[239:240], v[138:139], -v[162:163]
	buffer_store_dword v2, off, s[64:67], 0 offset:352 ; 4-byte Folded Spill
	s_nop 0
	buffer_store_dword v3, off, s[64:67], 0 offset:356 ; 4-byte Folded Spill
	buffer_store_dword v4, off, s[64:67], 0 offset:360 ; 4-byte Folded Spill
	s_nop 0
	buffer_store_dword v5, off, s[64:67], 0 offset:364 ; 4-byte Folded Spill
	s_mov_b32 s20, 0xeb564b22
	s_mov_b32 s21, 0xbfefdd0d
	;; [unrolled: 1-line block ×3, first 2 shown]
	v_fma_f64 v[44:45], v[217:218], s[2:3], -v[0:1]
	v_add_f64 v[223:224], v[116:117], v[168:169]
	s_mov_b32 s39, 0x3feec746
	v_add_f64 v[233:234], v[162:163], v[138:139]
	v_mul_f64 v[6:7], v[239:240], s[38:39]
	s_mov_b32 s16, 0x7c9e640b
	s_mov_b32 s17, 0xbfeca52d
	;; [unrolled: 1-line block ×3, first 2 shown]
	v_add_f64 v[44:45], v[108:109], v[44:45]
	v_mul_f64 v[22:23], v[221:222], s[16:17]
	v_add_f64 v[237:238], v[116:117], -v[168:169]
	s_mov_b32 s31, 0xbfd183b1
	v_mul_f64 v[40:41], v[233:234], s[30:31]
	buffer_store_dword v6, off, s[64:67], 0 offset:240 ; 4-byte Folded Spill
	s_nop 0
	buffer_store_dword v7, off, s[64:67], 0 offset:244 ; 4-byte Folded Spill
	s_mov_b32 s10, 0x2b2883cd
	s_mov_b32 s26, 0x6c9a05f6
	;; [unrolled: 1-line block ×4, first 2 shown]
	v_mul_f64 v[20:21], v[219:220], s[10:11]
	v_fma_f64 v[48:49], v[217:218], s[10:11], -v[22:23]
	v_mul_f64 v[26:27], v[229:230], s[26:27]
	buffer_store_dword v40, off, s[64:67], 0 offset:264 ; 4-byte Folded Spill
	s_nop 0
	buffer_store_dword v41, off, s[64:67], 0 offset:268 ; 4-byte Folded Spill
	s_mov_b32 s22, 0x6ed5f1bb
	s_mov_b32 s23, 0xbfe348c8
	v_mul_f64 v[24:25], v[221:222], s[20:21]
	v_mul_f64 v[58:59], v[225:226], s[22:23]
	v_fma_f64 v[50:51], v[227:228], s[16:17], v[20:21]
	v_add_f64 v[48:49], v[108:109], v[48:49]
	v_add_f64 v[253:254], v[114:115], -v[154:155]
	s_mov_b32 s28, 0xacd6c6b4
	s_mov_b32 s29, 0xbfc7851a
	v_mul_f64 v[10:11], v[219:220], s[18:19]
	v_fma_f64 v[52:53], v[217:218], s[18:19], -v[24:25]
	v_mul_f64 v[68:69], v[229:230], s[28:29]
	v_add_f64 v[50:51], v[110:111], v[50:51]
	v_add_f64 v[249:250], v[154:155], v[114:115]
	v_mul_f64 v[42:43], v[253:254], s[38:39]
	s_mov_b32 s24, 0x7faef3
	s_mov_b32 s25, 0xbfef7484
	v_fma_f64 v[54:55], v[227:228], s[20:21], v[10:11]
	v_add_f64 v[52:53], v[108:109], v[52:53]
	v_mul_f64 v[78:79], v[225:226], s[24:25]
	buffer_store_dword v42, off, s[64:67], 0 offset:224 ; 4-byte Folded Spill
	s_nop 0
	buffer_store_dword v43, off, s[64:67], 0 offset:228 ; 4-byte Folded Spill
	v_mul_f64 v[66:67], v[249:250], s[30:31]
	v_add_f64 v[231:232], v[160:161], v[136:137]
	v_add_f64 v[54:55], v[110:111], v[54:55]
	buffer_store_dword v66, off, s[64:67], 0 offset:232 ; 4-byte Folded Spill
	s_nop 0
	buffer_store_dword v67, off, s[64:67], 0 offset:236 ; 4-byte Folded Spill
	v_add_f64 v[243:244], v[136:137], -v[160:161]
	v_mul_f64 v[8:9], v[233:234], s[22:23]
	s_mov_b32 s45, 0x3fc7851a
	s_mov_b32 s44, s28
	v_mul_f64 v[56:57], v[239:240], s[44:45]
	v_mul_f64 v[70:71], v[233:234], s[24:25]
	v_add_f64 v[247:248], v[152:153], v[112:113]
	v_add_f64 v[235:236], v[112:113], -v[152:153]
	s_mov_b32 s42, 0x5d8e7cdc
	s_mov_b32 s43, 0x3fd71e95
	;; [unrolled: 1-line block ×4, first 2 shown]
	v_add_f64 v[241:242], v[130:131], -v[146:147]
	s_mov_b32 s50, 0x4363dd80
	s_mov_b32 s51, 0x3fe0d888
	v_add_f64 v[245:246], v[128:129], v[144:145]
	v_add_f64 v[251:252], v[130:131], v[146:147]
	s_mov_b32 s36, 0x910ea3b9
	v_fma_f64 v[46:47], v[227:228], s[8:9], v[2:3]
	v_mul_f64 v[2:3], v[229:230], s[20:21]
	s_mov_b32 s37, 0xbfeb34fa
	v_add_f64 v[186:187], v[128:129], -v[144:145]
	s_mov_b32 s53, 0x3fe58eea
	s_mov_b32 s52, s8
	v_mul_f64 v[203:204], v[251:252], s[36:37]
	v_add_f64 v[188:189], v[166:167], v[126:127]
	v_add_f64 v[46:47], v[110:111], v[46:47]
	v_fma_f64 v[64:65], v[223:224], s[18:19], -v[2:3]
	v_mul_f64 v[12:13], v[251:252], s[10:11]
	v_add_f64 v[192:193], v[126:127], -v[166:167]
	v_add_f64 v[184:185], v[164:165], v[124:125]
	v_add_f64 v[190:191], v[124:125], -v[164:165]
	s_mov_b32 s41, 0xbfd71e95
	s_mov_b32 s40, s42
	;; [unrolled: 1-line block ×3, first 2 shown]
	v_add_f64 v[44:45], v[64:65], v[44:45]
	v_fma_f64 v[64:65], v[237:238], s[20:21], v[4:5]
	v_mul_f64 v[4:5], v[239:240], s[26:27]
	v_mul_f64 v[74:75], v[192:193], s[38:39]
	s_mov_b32 s46, s50
	v_mul_f64 v[14:15], v[192:193], s[46:47]
	s_mov_b32 s55, 0x3feca52d
	s_mov_b32 s54, s16
	v_add_f64 v[196:197], v[134:135], v[158:159]
	v_add_f64 v[46:47], v[64:65], v[46:47]
	v_fma_f64 v[64:65], v[223:224], s[22:23], -v[26:27]
	v_add_f64 v[194:195], v[132:133], v[156:157]
	v_add_f64 v[198:199], v[132:133], -v[156:157]
	s_mov_b32 s59, 0x3fe9895b
	s_mov_b32 s58, s26
	v_mul_f64 v[72:73], v[196:197], s[10:11]
	v_add_f64 v[48:49], v[64:65], v[48:49]
	v_fma_f64 v[64:65], v[237:238], s[26:27], v[58:59]
	v_add_f64 v[50:51], v[64:65], v[50:51]
	v_fma_f64 v[64:65], v[223:224], s[24:25], -v[68:69]
	v_add_f64 v[52:53], v[64:65], v[52:53]
	v_fma_f64 v[64:65], v[237:238], s[28:29], v[78:79]
	v_add_f64 v[54:55], v[64:65], v[54:55]
	v_fma_f64 v[64:65], v[231:232], s[22:23], -v[4:5]
	;; [unrolled: 4-line block ×4, first 2 shown]
	v_mul_f64 v[6:7], v[253:254], s[28:29]
	v_add_f64 v[52:53], v[64:65], v[52:53]
	v_fma_f64 v[64:65], v[243:244], s[38:39], v[40:41]
	v_mul_f64 v[40:41], v[249:250], s[24:25]
	v_add_f64 v[54:55], v[64:65], v[54:55]
	v_fma_f64 v[64:65], v[247:248], s[24:25], -v[6:7]
	v_add_f64 v[44:45], v[64:65], v[44:45]
	v_fma_f64 v[64:65], v[235:236], s[28:29], v[40:41]
	v_add_f64 v[46:47], v[64:65], v[46:47]
	v_fma_f64 v[64:65], v[247:248], s[30:31], -v[42:43]
	v_mul_f64 v[42:43], v[253:254], s[42:43]
	buffer_store_dword v42, off, s[64:67], 0 offset:288 ; 4-byte Folded Spill
	s_nop 0
	buffer_store_dword v43, off, s[64:67], 0 offset:292 ; 4-byte Folded Spill
	v_add_f64 v[48:49], v[64:65], v[48:49]
	v_fma_f64 v[64:65], v[235:236], s[38:39], v[66:67]
	v_mul_f64 v[66:67], v[249:250], s[34:35]
	buffer_store_dword v66, off, s[64:67], 0 offset:312 ; 4-byte Folded Spill
	s_nop 0
	buffer_store_dword v67, off, s[64:67], 0 offset:316 ; 4-byte Folded Spill
	v_add_f64 v[50:51], v[64:65], v[50:51]
	v_fma_f64 v[64:65], v[247:248], s[34:35], -v[42:43]
	v_mul_f64 v[42:43], v[241:242], s[50:51]
	v_add_f64 v[52:53], v[64:65], v[52:53]
	v_fma_f64 v[64:65], v[235:236], s[42:43], v[66:67]
	v_mul_f64 v[66:67], v[251:252], s[2:3]
	v_add_f64 v[54:55], v[64:65], v[54:55]
	v_fma_f64 v[64:65], v[245:246], s[36:37], -v[42:43]
	v_add_f64 v[44:45], v[64:65], v[44:45]
	v_fma_f64 v[64:65], v[186:187], s[50:51], v[203:204]
	v_add_f64 v[46:47], v[64:65], v[46:47]
	v_mul_f64 v[64:65], v[241:242], s[52:53]
	buffer_store_dword v64, off, s[64:67], 0 offset:280 ; 4-byte Folded Spill
	s_nop 0
	buffer_store_dword v65, off, s[64:67], 0 offset:284 ; 4-byte Folded Spill
	buffer_store_dword v66, off, s[64:67], 0 offset:296 ; 4-byte Folded Spill
	s_nop 0
	buffer_store_dword v67, off, s[64:67], 0 offset:300 ; 4-byte Folded Spill
	v_fma_f64 v[64:65], v[245:246], s[2:3], -v[64:65]
	v_add_f64 v[48:49], v[64:65], v[48:49]
	v_fma_f64 v[64:65], v[186:187], s[52:53], v[66:67]
	v_mul_f64 v[66:67], v[188:189], s[30:31]
	v_add_f64 v[50:51], v[64:65], v[50:51]
	v_mul_f64 v[64:65], v[241:242], s[16:17]
	buffer_store_dword v64, off, s[64:67], 0 offset:344 ; 4-byte Folded Spill
	s_nop 0
	buffer_store_dword v65, off, s[64:67], 0 offset:348 ; 4-byte Folded Spill
	buffer_store_dword v66, off, s[64:67], 0 offset:256 ; 4-byte Folded Spill
	s_nop 0
	buffer_store_dword v67, off, s[64:67], 0 offset:260 ; 4-byte Folded Spill
	v_fma_f64 v[64:65], v[245:246], s[10:11], -v[64:65]
	v_add_f64 v[52:53], v[64:65], v[52:53]
	v_fma_f64 v[64:65], v[186:187], s[16:17], v[12:13]
	v_add_f64 v[54:55], v[64:65], v[54:55]
	v_fma_f64 v[64:65], v[184:185], s[30:31], -v[74:75]
	v_add_f64 v[64:65], v[64:65], v[44:45]
	v_fma_f64 v[44:45], v[190:191], s[38:39], v[66:67]
	v_mul_f64 v[66:67], v[188:189], s[34:35]
	v_add_f64 v[46:47], v[44:45], v[46:47]
	v_mul_f64 v[44:45], v[192:193], s[40:41]
	buffer_store_dword v44, off, s[64:67], 0 offset:320 ; 4-byte Folded Spill
	s_nop 0
	buffer_store_dword v45, off, s[64:67], 0 offset:324 ; 4-byte Folded Spill
	buffer_store_dword v66, off, s[64:67], 0 offset:336 ; 4-byte Folded Spill
	s_nop 0
	buffer_store_dword v67, off, s[64:67], 0 offset:340 ; 4-byte Folded Spill
	;; [unrolled: 3-line block ×3, first 2 shown]
	v_fma_f64 v[44:45], v[184:185], s[34:35], -v[44:45]
	v_add_f64 v[48:49], v[44:45], v[48:49]
	v_fma_f64 v[44:45], v[190:191], s[40:41], v[66:67]
	v_mul_f64 v[66:67], v[188:189], s[36:37]
	buffer_store_dword v66, off, s[64:67], 0 offset:400 ; 4-byte Folded Spill
	s_nop 0
	buffer_store_dword v67, off, s[64:67], 0 offset:404 ; 4-byte Folded Spill
	v_add_f64 v[50:51], v[44:45], v[50:51]
	v_fma_f64 v[44:45], v[184:185], s[36:37], -v[14:15]
	v_add_f64 v[52:53], v[44:45], v[52:53]
	v_fma_f64 v[44:45], v[190:191], s[46:47], v[66:67]
	v_add_f64 v[66:67], v[44:45], v[54:55]
	v_add_f64 v[44:45], v[134:135], -v[158:159]
	v_mul_f64 v[54:55], v[44:45], s[54:55]
	buffer_store_dword v54, off, s[64:67], 0 offset:248 ; 4-byte Folded Spill
	s_nop 0
	buffer_store_dword v55, off, s[64:67], 0 offset:252 ; 4-byte Folded Spill
	buffer_store_dword v72, off, s[64:67], 0 offset:328 ; 4-byte Folded Spill
	s_nop 0
	buffer_store_dword v73, off, s[64:67], 0 offset:332 ; 4-byte Folded Spill
	v_mul_f64 v[14:15], v[44:45], s[20:21]
	v_fma_f64 v[54:55], v[194:195], s[10:11], -v[54:55]
	v_add_f64 v[64:65], v[54:55], v[64:65]
	v_fma_f64 v[54:55], v[198:199], s[54:55], v[72:73]
	v_add_f64 v[72:73], v[54:55], v[46:47]
	v_mul_f64 v[54:55], v[196:197], s[18:19]
	buffer_store_dword v54, off, s[64:67], 0 offset:368 ; 4-byte Folded Spill
	s_nop 0
	buffer_store_dword v55, off, s[64:67], 0 offset:372 ; 4-byte Folded Spill
	v_fma_f64 v[46:47], v[194:195], s[18:19], -v[14:15]
	v_add_f64 v[176:177], v[46:47], v[48:49]
	v_add_f64 v[48:49], v[142:143], v[150:151]
	v_mul_f64 v[174:175], v[48:49], s[34:35]
	v_mul_f64 v[200:201], v[48:49], s[2:3]
	v_fma_f64 v[46:47], v[198:199], s[20:21], v[54:55]
	v_mul_f64 v[54:55], v[196:197], s[22:23]
	v_add_f64 v[178:179], v[46:47], v[50:51]
	v_mul_f64 v[46:47], v[44:45], s[58:59]
	buffer_store_dword v46, off, s[64:67], 0 offset:408 ; 4-byte Folded Spill
	s_nop 0
	buffer_store_dword v47, off, s[64:67], 0 offset:412 ; 4-byte Folded Spill
	v_add_f64 v[50:51], v[140:141], -v[148:149]
	v_fma_f64 v[46:47], v[194:195], s[22:23], -v[46:47]
	v_add_f64 v[180:181], v[46:47], v[52:53]
	v_add_f64 v[52:53], v[142:143], -v[150:151]
	v_fma_f64 v[46:47], v[198:199], s[58:59], v[54:55]
	v_mul_f64 v[76:77], v[52:53], s[42:43]
	buffer_store_dword v76, off, s[64:67], 0 offset:304 ; 4-byte Folded Spill
	s_nop 0
	buffer_store_dword v77, off, s[64:67], 0 offset:308 ; 4-byte Folded Spill
	buffer_store_dword v174, off, s[64:67], 0 offset:384 ; 4-byte Folded Spill
	s_nop 0
	buffer_store_dword v175, off, s[64:67], 0 offset:388 ; 4-byte Folded Spill
	v_add_f64 v[66:67], v[46:47], v[66:67]
	v_add_f64 v[46:47], v[140:141], v[148:149]
	s_waitcnt vmcnt(0)
	s_barrier
	v_fma_f64 v[76:77], v[46:47], s[34:35], -v[76:77]
	v_add_f64 v[172:173], v[76:77], v[64:65]
	v_fma_f64 v[64:65], v[50:51], s[42:43], v[174:175]
	v_mul_f64 v[76:77], v[48:49], s[36:37]
	v_add_f64 v[174:175], v[64:65], v[72:73]
	v_mul_f64 v[72:73], v[52:53], s[46:47]
	v_fma_f64 v[64:65], v[46:47], s[36:37], -v[72:73]
	v_add_f64 v[176:177], v[64:65], v[176:177]
	v_fma_f64 v[64:65], v[50:51], s[46:47], v[76:77]
	v_add_f64 v[178:179], v[64:65], v[178:179]
	v_mul_f64 v[64:65], v[52:53], s[52:53]
	v_fma_f64 v[182:183], v[46:47], s[2:3], -v[64:65]
	v_add_f64 v[180:181], v[182:183], v[180:181]
	v_fma_f64 v[182:183], v[50:51], s[52:53], v[200:201]
	v_add_f64 v[182:183], v[182:183], v[66:67]
	s_and_saveexec_b64 s[48:49], vcc
	s_cbranch_execz .LBB0_17
; %bb.16:
	buffer_store_dword v203, off, s[64:67], 0 offset:512 ; 4-byte Folded Spill
	s_nop 0
	buffer_store_dword v204, off, s[64:67], 0 offset:516 ; 4-byte Folded Spill
	buffer_store_dword v206, off, s[64:67], 0 offset:416 ; 4-byte Folded Spill
	s_nop 0
	buffer_store_dword v207, off, s[64:67], 0 offset:420 ; 4-byte Folded Spill
	v_mul_f64 v[66:67], v[227:228], s[28:29]
	v_mul_f64 v[203:204], v[237:238], s[42:43]
	s_mov_b32 s57, 0xbfeec746
	s_mov_b32 s56, s38
	;; [unrolled: 1-line block ×4, first 2 shown]
	buffer_store_dword v207, off, s[64:67], 0 ; 4-byte Folded Spill
	s_nop 0
	buffer_store_dword v208, off, s[64:67], 0 offset:4 ; 4-byte Folded Spill
	buffer_store_dword v209, off, s[64:67], 0 offset:8 ; 4-byte Folded Spill
	buffer_store_dword v210, off, s[64:67], 0 offset:12 ; 4-byte Folded Spill
	v_fma_f64 v[205:206], v[219:220], s[24:25], v[66:67]
	v_fma_f64 v[207:208], v[225:226], s[34:35], v[203:204]
	v_mul_f64 v[209:210], v[221:222], s[28:29]
	buffer_store_dword v211, off, s[64:67], 0 offset:424 ; 4-byte Folded Spill
	s_nop 0
	buffer_store_dword v212, off, s[64:67], 0 offset:428 ; 4-byte Folded Spill
	buffer_store_dword v213, off, s[64:67], 0 offset:432 ; 4-byte Folded Spill
	;; [unrolled: 1-line block ×3, first 2 shown]
	v_mul_f64 v[211:212], v[229:230], s[42:43]
	buffer_store_dword v0, off, s[64:67], 0 offset:568 ; 4-byte Folded Spill
	s_nop 0
	buffer_store_dword v1, off, s[64:67], 0 offset:572 ; 4-byte Folded Spill
	buffer_store_dword v2, off, s[64:67], 0 offset:536 ; 4-byte Folded Spill
	s_nop 0
	buffer_store_dword v3, off, s[64:67], 0 offset:540 ; 4-byte Folded Spill
	v_mul_f64 v[2:3], v[239:240], s[46:47]
	v_add_f64 v[205:206], v[110:111], v[205:206]
	buffer_store_dword v68, off, s[64:67], 0 offset:624 ; 4-byte Folded Spill
	s_nop 0
	buffer_store_dword v69, off, s[64:67], 0 offset:628 ; 4-byte Folded Spill
	buffer_store_dword v70, off, s[64:67], 0 offset:616 ; 4-byte Folded Spill
	s_nop 0
	buffer_store_dword v71, off, s[64:67], 0 offset:620 ; 4-byte Folded Spill
	;; [unrolled: 3-line block ×3, first 2 shown]
	v_fma_f64 v[213:214], v[223:224], s[34:35], -v[211:212]
	buffer_store_dword v74, off, s[64:67], 0 offset:488 ; 4-byte Folded Spill
	s_nop 0
	buffer_store_dword v75, off, s[64:67], 0 offset:492 ; 4-byte Folded Spill
	buffer_store_dword v76, off, s[64:67], 0 offset:600 ; 4-byte Folded Spill
	s_nop 0
	buffer_store_dword v77, off, s[64:67], 0 offset:604 ; 4-byte Folded Spill
	;; [unrolled: 3-line block ×3, first 2 shown]
	v_add_f64 v[205:206], v[207:208], v[205:206]
	v_fma_f64 v[207:208], v[217:218], s[24:25], -v[209:210]
	buffer_store_dword v4, off, s[64:67], 0 offset:544 ; 4-byte Folded Spill
	s_nop 0
	buffer_store_dword v5, off, s[64:67], 0 offset:548 ; 4-byte Folded Spill
	buffer_store_dword v6, off, s[64:67], 0 offset:496 ; 4-byte Folded Spill
	s_nop 0
	buffer_store_dword v7, off, s[64:67], 0 offset:500 ; 4-byte Folded Spill
	buffer_store_dword v8, off, s[64:67], 0 offset:576 ; 4-byte Folded Spill
	s_nop 0
	buffer_store_dword v9, off, s[64:67], 0 offset:580 ; 4-byte Folded Spill
	buffer_store_dword v14, off, s[64:67], 0 offset:608 ; 4-byte Folded Spill
	s_nop 0
	buffer_store_dword v15, off, s[64:67], 0 offset:612 ; 4-byte Folded Spill
	buffer_store_dword v12, off, s[64:67], 0 offset:640 ; 4-byte Folded Spill
	s_nop 0
	buffer_store_dword v13, off, s[64:67], 0 offset:644 ; 4-byte Folded Spill
	v_add_f64 v[207:208], v[108:109], v[207:208]
	v_add_f64 v[207:208], v[213:214], v[207:208]
	v_mul_f64 v[213:214], v[243:244], s[46:47]
	v_fma_f64 v[0:1], v[233:234], s[36:37], v[213:214]
	v_add_f64 v[0:1], v[0:1], v[205:206]
	v_fma_f64 v[205:206], v[231:232], s[36:37], -v[2:3]
	v_fma_f64 v[2:3], v[231:232], s[36:37], v[2:3]
	v_add_f64 v[205:206], v[205:206], v[207:208]
	v_mul_f64 v[207:208], v[235:236], s[52:53]
	v_fma_f64 v[68:69], v[249:250], s[2:3], v[207:208]
	v_add_f64 v[0:1], v[68:69], v[0:1]
	v_mul_f64 v[68:69], v[253:254], s[52:53]
	v_fma_f64 v[70:71], v[247:248], s[2:3], -v[68:69]
	v_add_f64 v[70:71], v[70:71], v[205:206]
	v_mul_f64 v[205:206], v[186:187], s[26:27]
	v_fma_f64 v[72:73], v[251:252], s[22:23], v[205:206]
	v_add_f64 v[0:1], v[72:73], v[0:1]
	v_mul_f64 v[72:73], v[241:242], s[26:27]
	v_fma_f64 v[74:75], v[245:246], s[22:23], -v[72:73]
	;; [unrolled: 6-line block ×4, first 2 shown]
	v_fma_f64 v[4:5], v[194:195], s[30:31], v[4:5]
	v_add_f64 v[6:7], v[6:7], v[70:71]
	v_mul_f64 v[70:71], v[50:51], s[60:61]
	v_fma_f64 v[8:9], v[48:49], s[18:19], v[70:71]
	v_add_f64 v[14:15], v[8:9], v[0:1]
	v_mul_f64 v[0:1], v[52:53], s[60:61]
	v_fma_f64 v[8:9], v[46:47], s[18:19], -v[0:1]
	v_fma_f64 v[0:1], v[46:47], s[18:19], v[0:1]
	v_add_f64 v[12:13], v[8:9], v[6:7]
	v_fma_f64 v[6:7], v[219:220], s[24:25], -v[66:67]
	v_fma_f64 v[8:9], v[225:226], s[34:35], -v[203:204]
	buffer_store_dword v12, off, s[64:67], 0 offset:440 ; 4-byte Folded Spill
	s_nop 0
	buffer_store_dword v13, off, s[64:67], 0 offset:444 ; 4-byte Folded Spill
	buffer_store_dword v14, off, s[64:67], 0 offset:448 ; 4-byte Folded Spill
	buffer_store_dword v15, off, s[64:67], 0 offset:452 ; 4-byte Folded Spill
	v_add_f64 v[6:7], v[110:111], v[6:7]
	buffer_store_dword v40, off, s[64:67], 0 offset:584 ; 4-byte Folded Spill
	s_nop 0
	buffer_store_dword v41, off, s[64:67], 0 offset:588 ; 4-byte Folded Spill
	buffer_store_dword v42, off, s[64:67], 0 offset:504 ; 4-byte Folded Spill
	s_nop 0
	buffer_store_dword v43, off, s[64:67], 0 offset:508 ; 4-byte Folded Spill
	v_mov_b32_e32 v43, v11
	v_mov_b32_e32 v42, v10
	v_fma_f64 v[10:11], v[223:224], s[34:35], v[211:212]
	v_mov_b32_e32 v41, v23
	v_mov_b32_e32 v40, v22
	v_add_f64 v[6:7], v[8:9], v[6:7]
	v_fma_f64 v[8:9], v[217:218], s[24:25], v[209:210]
	v_mov_b32_e32 v23, v21
	v_mov_b32_e32 v22, v20
	v_add_f64 v[8:9], v[108:109], v[8:9]
	v_add_f64 v[8:9], v[10:11], v[8:9]
	v_fma_f64 v[10:11], v[233:234], s[36:37], -v[213:214]
	v_mul_f64 v[214:215], v[192:193], s[60:61]
	v_add_f64 v[2:3], v[2:3], v[8:9]
	v_add_f64 v[6:7], v[10:11], v[6:7]
	v_fma_f64 v[8:9], v[249:250], s[2:3], -v[207:208]
	v_add_f64 v[6:7], v[8:9], v[6:7]
	v_fma_f64 v[8:9], v[251:252], s[22:23], -v[205:206]
	;; [unrolled: 2-line block ×3, first 2 shown]
	v_mul_f64 v[74:75], v[229:230], s[54:55]
	v_add_f64 v[6:7], v[8:9], v[6:7]
	v_fma_f64 v[8:9], v[196:197], s[30:31], -v[78:79]
	v_add_f64 v[6:7], v[8:9], v[6:7]
	v_fma_f64 v[8:9], v[247:248], s[2:3], v[68:69]
	v_add_f64 v[2:3], v[8:9], v[2:3]
	v_fma_f64 v[8:9], v[245:246], s[22:23], v[72:73]
	;; [unrolled: 2-line block ×3, first 2 shown]
	v_fma_f64 v[76:77], v[223:224], s[10:11], -v[74:75]
	v_add_f64 v[2:3], v[8:9], v[2:3]
	v_add_f64 v[2:3], v[4:5], v[2:3]
	v_fma_f64 v[4:5], v[48:49], s[18:19], -v[70:71]
	v_add_f64 v[2:3], v[0:1], v[2:3]
	v_add_f64 v[4:5], v[4:5], v[6:7]
	v_mul_f64 v[0:1], v[227:228], s[46:47]
	buffer_store_dword v2, off, s[64:67], 0 offset:456 ; 4-byte Folded Spill
	s_nop 0
	buffer_store_dword v3, off, s[64:67], 0 offset:460 ; 4-byte Folded Spill
	buffer_store_dword v4, off, s[64:67], 0 offset:464 ; 4-byte Folded Spill
	;; [unrolled: 1-line block ×3, first 2 shown]
	v_fma_f64 v[2:3], v[219:220], s[36:37], v[0:1]
	v_mul_f64 v[4:5], v[237:238], s[54:55]
	v_fma_f64 v[0:1], v[219:220], s[36:37], -v[0:1]
	v_add_f64 v[2:3], v[110:111], v[2:3]
	v_fma_f64 v[6:7], v[225:226], s[10:11], v[4:5]
	v_fma_f64 v[4:5], v[225:226], s[10:11], -v[4:5]
	v_add_f64 v[0:1], v[110:111], v[0:1]
	v_add_f64 v[2:3], v[6:7], v[2:3]
	v_mul_f64 v[6:7], v[243:244], s[20:21]
	v_add_f64 v[0:1], v[4:5], v[0:1]
	v_fma_f64 v[8:9], v[233:234], s[18:19], v[6:7]
	v_fma_f64 v[4:5], v[233:234], s[18:19], -v[6:7]
	v_fma_f64 v[6:7], v[223:224], s[10:11], v[74:75]
	v_mul_f64 v[74:75], v[229:230], s[38:39]
	v_add_f64 v[2:3], v[8:9], v[2:3]
	v_mul_f64 v[8:9], v[235:236], s[58:59]
	v_add_f64 v[0:1], v[4:5], v[0:1]
	v_fma_f64 v[10:11], v[249:250], s[22:23], v[8:9]
	v_fma_f64 v[4:5], v[249:250], s[22:23], -v[8:9]
	v_add_f64 v[2:3], v[10:11], v[2:3]
	v_mul_f64 v[10:11], v[186:187], s[40:41]
	v_add_f64 v[0:1], v[4:5], v[0:1]
	v_fma_f64 v[66:67], v[251:252], s[34:35], v[10:11]
	v_fma_f64 v[4:5], v[251:252], s[34:35], -v[10:11]
	;; [unrolled: 5-line block ×4, first 2 shown]
	v_add_f64 v[2:3], v[70:71], v[2:3]
	v_mul_f64 v[70:71], v[221:222], s[46:47]
	v_add_f64 v[0:1], v[4:5], v[0:1]
	v_fma_f64 v[72:73], v[217:218], s[36:37], -v[70:71]
	v_fma_f64 v[4:5], v[217:218], s[36:37], v[70:71]
	v_add_f64 v[72:73], v[108:109], v[72:73]
	v_add_f64 v[4:5], v[108:109], v[4:5]
	;; [unrolled: 1-line block ×3, first 2 shown]
	v_mul_f64 v[76:77], v[239:240], s[20:21]
	v_add_f64 v[4:5], v[6:7], v[4:5]
	v_fma_f64 v[78:79], v[231:232], s[18:19], -v[76:77]
	v_fma_f64 v[6:7], v[231:232], s[18:19], v[76:77]
	v_fma_f64 v[76:77], v[223:224], s[30:31], -v[74:75]
	v_add_f64 v[72:73], v[78:79], v[72:73]
	v_mul_f64 v[78:79], v[253:254], s[58:59]
	v_add_f64 v[4:5], v[6:7], v[4:5]
	v_fma_f64 v[203:204], v[247:248], s[22:23], -v[78:79]
	v_fma_f64 v[6:7], v[247:248], s[22:23], v[78:79]
	v_add_f64 v[72:73], v[203:204], v[72:73]
	v_mul_f64 v[203:204], v[241:242], s[40:41]
	v_add_f64 v[4:5], v[6:7], v[4:5]
	v_fma_f64 v[205:206], v[245:246], s[34:35], -v[203:204]
	v_fma_f64 v[6:7], v[245:246], s[34:35], v[203:204]
	;; [unrolled: 5-line block ×4, first 2 shown]
	v_add_f64 v[72:73], v[209:210], v[72:73]
	v_mul_f64 v[209:210], v[50:51], s[56:57]
	v_add_f64 v[4:5], v[6:7], v[4:5]
	v_fma_f64 v[211:212], v[48:49], s[30:31], v[209:210]
	v_fma_f64 v[6:7], v[48:49], s[30:31], -v[209:210]
	v_add_f64 v[14:15], v[211:212], v[2:3]
	v_mul_f64 v[2:3], v[52:53], s[56:57]
	v_add_f64 v[6:7], v[6:7], v[0:1]
	v_mul_f64 v[0:1], v[227:228], s[26:27]
	v_fma_f64 v[211:212], v[46:47], s[30:31], -v[2:3]
	v_fma_f64 v[2:3], v[46:47], s[30:31], v[2:3]
	v_add_f64 v[12:13], v[211:212], v[72:73]
	v_add_f64 v[4:5], v[2:3], v[4:5]
	buffer_store_dword v12, off, s[64:67], 0 offset:472 ; 4-byte Folded Spill
	s_nop 0
	buffer_store_dword v13, off, s[64:67], 0 offset:476 ; 4-byte Folded Spill
	buffer_store_dword v14, off, s[64:67], 0 offset:480 ; 4-byte Folded Spill
	;; [unrolled: 1-line block ×4, first 2 shown]
	s_nop 0
	buffer_store_dword v5, off, s[64:67], 0 offset:524 ; 4-byte Folded Spill
	buffer_store_dword v6, off, s[64:67], 0 offset:528 ; 4-byte Folded Spill
	;; [unrolled: 1-line block ×3, first 2 shown]
	v_fma_f64 v[2:3], v[219:220], s[22:23], v[0:1]
	v_mul_f64 v[4:5], v[237:238], s[38:39]
	v_fma_f64 v[0:1], v[219:220], s[22:23], -v[0:1]
	v_add_f64 v[2:3], v[110:111], v[2:3]
	v_fma_f64 v[6:7], v[225:226], s[30:31], v[4:5]
	v_fma_f64 v[4:5], v[225:226], s[30:31], -v[4:5]
	v_add_f64 v[0:1], v[110:111], v[0:1]
	v_add_f64 v[2:3], v[6:7], v[2:3]
	v_mul_f64 v[6:7], v[243:244], s[40:41]
	v_add_f64 v[0:1], v[4:5], v[0:1]
	v_fma_f64 v[8:9], v[233:234], s[34:35], v[6:7]
	v_fma_f64 v[4:5], v[233:234], s[34:35], -v[6:7]
	v_fma_f64 v[6:7], v[223:224], s[30:31], v[74:75]
	v_mul_f64 v[74:75], v[229:230], s[50:51]
	v_add_f64 v[2:3], v[8:9], v[2:3]
	v_mul_f64 v[8:9], v[235:236], s[46:47]
	v_add_f64 v[0:1], v[4:5], v[0:1]
	v_fma_f64 v[10:11], v[249:250], s[36:37], v[8:9]
	v_fma_f64 v[4:5], v[249:250], s[36:37], -v[8:9]
	v_add_f64 v[2:3], v[10:11], v[2:3]
	v_mul_f64 v[10:11], v[186:187], s[60:61]
	v_add_f64 v[0:1], v[4:5], v[0:1]
	v_fma_f64 v[66:67], v[251:252], s[18:19], v[10:11]
	v_fma_f64 v[4:5], v[251:252], s[18:19], -v[10:11]
	;; [unrolled: 5-line block ×4, first 2 shown]
	v_add_f64 v[2:3], v[70:71], v[2:3]
	v_mul_f64 v[70:71], v[221:222], s[26:27]
	v_add_f64 v[0:1], v[4:5], v[0:1]
	v_fma_f64 v[72:73], v[217:218], s[22:23], -v[70:71]
	v_fma_f64 v[4:5], v[217:218], s[22:23], v[70:71]
	v_add_f64 v[72:73], v[108:109], v[72:73]
	v_add_f64 v[4:5], v[108:109], v[4:5]
	;; [unrolled: 1-line block ×3, first 2 shown]
	v_mul_f64 v[76:77], v[239:240], s[40:41]
	v_add_f64 v[4:5], v[6:7], v[4:5]
	v_fma_f64 v[78:79], v[231:232], s[34:35], -v[76:77]
	v_fma_f64 v[6:7], v[231:232], s[34:35], v[76:77]
	v_fma_f64 v[76:77], v[223:224], s[36:37], -v[74:75]
	v_add_f64 v[72:73], v[78:79], v[72:73]
	v_mul_f64 v[78:79], v[253:254], s[46:47]
	v_add_f64 v[4:5], v[6:7], v[4:5]
	v_fma_f64 v[203:204], v[247:248], s[36:37], -v[78:79]
	v_fma_f64 v[6:7], v[247:248], s[36:37], v[78:79]
	v_add_f64 v[72:73], v[203:204], v[72:73]
	v_mul_f64 v[203:204], v[241:242], s[60:61]
	v_add_f64 v[4:5], v[6:7], v[4:5]
	v_fma_f64 v[205:206], v[245:246], s[18:19], -v[203:204]
	v_fma_f64 v[6:7], v[245:246], s[18:19], v[203:204]
	;; [unrolled: 5-line block ×4, first 2 shown]
	v_add_f64 v[72:73], v[209:210], v[72:73]
	v_mul_f64 v[209:210], v[50:51], s[54:55]
	v_add_f64 v[4:5], v[6:7], v[4:5]
	v_fma_f64 v[211:212], v[48:49], s[10:11], v[209:210]
	v_fma_f64 v[6:7], v[48:49], s[10:11], -v[209:210]
	v_add_f64 v[14:15], v[211:212], v[2:3]
	v_mul_f64 v[2:3], v[52:53], s[54:55]
	v_add_f64 v[205:206], v[6:7], v[0:1]
	v_mul_f64 v[0:1], v[227:228], s[56:57]
	v_fma_f64 v[211:212], v[46:47], s[10:11], -v[2:3]
	v_fma_f64 v[2:3], v[46:47], s[10:11], v[2:3]
	v_add_f64 v[12:13], v[211:212], v[72:73]
	v_add_f64 v[203:204], v[2:3], v[4:5]
	v_fma_f64 v[2:3], v[219:220], s[30:31], v[0:1]
	v_mul_f64 v[4:5], v[237:238], s[50:51]
	v_fma_f64 v[0:1], v[219:220], s[30:31], -v[0:1]
	v_mul_f64 v[212:213], v[241:242], s[28:29]
	buffer_store_dword v12, off, s[64:67], 0 offset:552 ; 4-byte Folded Spill
	s_nop 0
	buffer_store_dword v13, off, s[64:67], 0 offset:556 ; 4-byte Folded Spill
	buffer_store_dword v14, off, s[64:67], 0 offset:560 ; 4-byte Folded Spill
	;; [unrolled: 1-line block ×3, first 2 shown]
	v_mul_f64 v[12:13], v[44:45], s[40:41]
	v_add_f64 v[2:3], v[110:111], v[2:3]
	v_fma_f64 v[6:7], v[225:226], s[36:37], v[4:5]
	v_fma_f64 v[4:5], v[225:226], s[36:37], -v[4:5]
	v_add_f64 v[0:1], v[110:111], v[0:1]
	v_mul_f64 v[44:45], v[44:45], s[46:47]
	v_fma_f64 v[14:15], v[194:195], s[34:35], -v[12:13]
	v_add_f64 v[2:3], v[6:7], v[2:3]
	v_mul_f64 v[6:7], v[243:244], s[52:53]
	v_add_f64 v[0:1], v[4:5], v[0:1]
	v_fma_f64 v[8:9], v[233:234], s[2:3], v[6:7]
	v_fma_f64 v[4:5], v[233:234], s[2:3], -v[6:7]
	v_fma_f64 v[6:7], v[223:224], s[36:37], v[74:75]
	v_mul_f64 v[74:75], v[231:232], s[22:23]
	v_add_f64 v[2:3], v[8:9], v[2:3]
	v_mul_f64 v[8:9], v[235:236], s[16:17]
	v_add_f64 v[0:1], v[4:5], v[0:1]
	v_fma_f64 v[10:11], v[249:250], s[10:11], v[8:9]
	v_fma_f64 v[4:5], v[249:250], s[10:11], -v[8:9]
	v_mul_f64 v[8:9], v[223:224], s[24:25]
	v_add_f64 v[2:3], v[10:11], v[2:3]
	v_mul_f64 v[10:11], v[186:187], s[28:29]
	v_add_f64 v[0:1], v[4:5], v[0:1]
	v_fma_f64 v[66:67], v[251:252], s[24:25], v[10:11]
	v_fma_f64 v[4:5], v[251:252], s[24:25], -v[10:11]
	v_add_f64 v[2:3], v[66:67], v[2:3]
	v_mul_f64 v[66:67], v[190:191], s[60:61]
	v_add_f64 v[0:1], v[4:5], v[0:1]
	v_fma_f64 v[68:69], v[188:189], s[18:19], v[66:67]
	v_fma_f64 v[4:5], v[188:189], s[18:19], -v[66:67]
	;; [unrolled: 5-line block ×3, first 2 shown]
	v_mul_f64 v[68:69], v[247:248], s[30:31]
	v_add_f64 v[2:3], v[70:71], v[2:3]
	v_mul_f64 v[70:71], v[221:222], s[56:57]
	v_add_f64 v[0:1], v[4:5], v[0:1]
	v_fma_f64 v[72:73], v[217:218], s[30:31], -v[70:71]
	v_fma_f64 v[4:5], v[217:218], s[30:31], v[70:71]
	v_mul_f64 v[70:71], v[223:224], s[18:19]
	v_add_f64 v[72:73], v[108:109], v[72:73]
	v_add_f64 v[4:5], v[108:109], v[4:5]
	;; [unrolled: 1-line block ×3, first 2 shown]
	v_mul_f64 v[76:77], v[239:240], s[52:53]
	v_add_f64 v[4:5], v[6:7], v[4:5]
	v_fma_f64 v[78:79], v[231:232], s[2:3], -v[76:77]
	v_fma_f64 v[6:7], v[231:232], s[2:3], v[76:77]
	v_mul_f64 v[76:77], v[184:185], s[34:35]
	v_add_f64 v[72:73], v[78:79], v[72:73]
	v_mul_f64 v[78:79], v[253:254], s[16:17]
	v_add_f64 v[4:5], v[6:7], v[4:5]
	v_fma_f64 v[208:209], v[247:248], s[10:11], -v[78:79]
	v_fma_f64 v[6:7], v[247:248], s[10:11], v[78:79]
	v_mul_f64 v[78:79], v[247:248], s[24:25]
	v_add_f64 v[72:73], v[208:209], v[72:73]
	v_fma_f64 v[208:209], v[245:246], s[24:25], -v[212:213]
	v_add_f64 v[4:5], v[6:7], v[4:5]
	v_fma_f64 v[6:7], v[245:246], s[24:25], v[212:213]
	v_add_f64 v[72:73], v[208:209], v[72:73]
	v_fma_f64 v[208:209], v[184:185], s[18:19], -v[214:215]
	v_add_f64 v[4:5], v[6:7], v[4:5]
	v_fma_f64 v[6:7], v[184:185], s[18:19], v[214:215]
	v_add_f64 v[72:73], v[208:209], v[72:73]
	v_add_f64 v[4:5], v[6:7], v[4:5]
	v_fma_f64 v[6:7], v[194:195], s[34:35], v[12:13]
	v_add_f64 v[14:15], v[14:15], v[72:73]
	v_mul_f64 v[72:73], v[50:51], s[26:27]
	v_add_f64 v[4:5], v[6:7], v[4:5]
	v_fma_f64 v[208:209], v[48:49], s[22:23], v[72:73]
	v_fma_f64 v[6:7], v[48:49], s[22:23], -v[72:73]
	v_mul_f64 v[72:73], v[245:246], s[2:3]
	v_add_f64 v[210:211], v[208:209], v[2:3]
	v_mul_f64 v[2:3], v[52:53], s[26:27]
	v_add_f64 v[214:215], v[6:7], v[0:1]
	v_mul_f64 v[0:1], v[243:244], s[38:39]
	v_fma_f64 v[208:209], v[46:47], s[22:23], -v[2:3]
	v_fma_f64 v[2:3], v[46:47], s[22:23], v[2:3]
	v_add_f64 v[208:209], v[208:209], v[14:15]
	v_add_f64 v[212:213], v[2:3], v[4:5]
	buffer_load_dword v2, off, s[64:67], 0 offset:264 ; 4-byte Folded Reload
	buffer_load_dword v3, off, s[64:67], 0 offset:268 ; 4-byte Folded Reload
	;; [unrolled: 1-line block ×4, first 2 shown]
	v_mul_f64 v[4:5], v[237:238], s[28:29]
	s_waitcnt vmcnt(2)
	v_add_f64 v[0:1], v[2:3], -v[0:1]
	s_waitcnt vmcnt(0)
	v_add_f64 v[4:5], v[6:7], -v[4:5]
	buffer_load_dword v6, off, s[64:67], 0 offset:312 ; 4-byte Folded Reload
	buffer_load_dword v7, off, s[64:67], 0 offset:316 ; 4-byte Folded Reload
	v_mul_f64 v[2:3], v[227:228], s[20:21]
	v_add_f64 v[2:3], v[42:43], -v[2:3]
	v_add_f64 v[2:3], v[110:111], v[2:3]
	v_add_f64 v[2:3], v[4:5], v[2:3]
	v_mul_f64 v[4:5], v[235:236], s[42:43]
	v_add_f64 v[0:1], v[0:1], v[2:3]
	v_mul_f64 v[2:3], v[186:187], s[16:17]
	s_waitcnt vmcnt(0)
	v_add_f64 v[4:5], v[6:7], -v[4:5]
	buffer_load_dword v6, off, s[64:67], 0 offset:640 ; 4-byte Folded Reload
	buffer_load_dword v7, off, s[64:67], 0 offset:644 ; 4-byte Folded Reload
	v_add_f64 v[0:1], v[4:5], v[0:1]
	v_mul_f64 v[4:5], v[190:191], s[46:47]
	s_waitcnt vmcnt(0)
	v_add_f64 v[2:3], v[6:7], -v[2:3]
	buffer_load_dword v6, off, s[64:67], 0 offset:400 ; 4-byte Folded Reload
	buffer_load_dword v7, off, s[64:67], 0 offset:404 ; 4-byte Folded Reload
	v_add_f64 v[0:1], v[2:3], v[0:1]
	v_mul_f64 v[2:3], v[198:199], s[58:59]
	v_add_f64 v[2:3], v[54:55], -v[2:3]
	v_mul_f64 v[54:55], v[227:228], s[8:9]
	s_waitcnt vmcnt(0)
	v_add_f64 v[4:5], v[6:7], -v[4:5]
	buffer_load_dword v6, off, s[64:67], 0 offset:240 ; 4-byte Folded Reload
	buffer_load_dword v7, off, s[64:67], 0 offset:244 ; 4-byte Folded Reload
	;; [unrolled: 1-line block ×4, first 2 shown]
	v_add_f64 v[0:1], v[4:5], v[0:1]
	v_mul_f64 v[4:5], v[50:51], s[52:53]
	v_add_f64 v[0:1], v[2:3], v[0:1]
	v_mul_f64 v[2:3], v[231:232], s[30:31]
	v_add_f64 v[4:5], v[200:201], -v[4:5]
	v_mul_f64 v[200:201], v[245:246], s[36:37]
	v_add_f64 v[66:67], v[4:5], v[0:1]
	v_mul_f64 v[0:1], v[217:218], s[10:11]
	v_add_f64 v[0:1], v[0:1], v[40:41]
	v_mov_b32_e32 v43, v39
	v_mov_b32_e32 v42, v38
	v_mov_b32_e32 v41, v37
	v_mov_b32_e32 v40, v36
	v_mov_b32_e32 v39, v35
	v_mov_b32_e32 v38, v34
	v_mov_b32_e32 v37, v33
	v_add_f64 v[0:1], v[108:109], v[0:1]
	v_mov_b32_e32 v36, v32
	v_mov_b32_e32 v35, v31
	;; [unrolled: 1-line block ×9, first 2 shown]
	v_mul_f64 v[18:19], v[46:47], s[36:37]
	v_mul_f64 v[16:17], v[186:187], s[50:51]
	s_waitcnt vmcnt(2)
	v_add_f64 v[2:3], v[2:3], v[6:7]
	s_waitcnt vmcnt(0)
	v_add_f64 v[8:9], v[8:9], v[10:11]
	buffer_load_dword v10, off, s[64:67], 0 offset:288 ; 4-byte Folded Reload
	buffer_load_dword v11, off, s[64:67], 0 offset:292 ; 4-byte Folded Reload
	v_mul_f64 v[6:7], v[217:218], s[18:19]
	v_add_f64 v[6:7], v[6:7], v[24:25]
	v_add_f64 v[6:7], v[108:109], v[6:7]
	;; [unrolled: 1-line block ×3, first 2 shown]
	v_mul_f64 v[8:9], v[247:248], s[34:35]
	v_add_f64 v[2:3], v[2:3], v[6:7]
	v_mul_f64 v[6:7], v[245:246], s[10:11]
	s_waitcnt vmcnt(0)
	v_add_f64 v[8:9], v[8:9], v[10:11]
	buffer_load_dword v10, off, s[64:67], 0 offset:344 ; 4-byte Folded Reload
	buffer_load_dword v11, off, s[64:67], 0 offset:348 ; 4-byte Folded Reload
	v_add_f64 v[2:3], v[8:9], v[2:3]
	v_mul_f64 v[8:9], v[184:185], s[36:37]
	s_waitcnt vmcnt(0)
	v_add_f64 v[6:7], v[6:7], v[10:11]
	buffer_load_dword v10, off, s[64:67], 0 offset:392 ; 4-byte Folded Reload
	buffer_load_dword v11, off, s[64:67], 0 offset:396 ; 4-byte Folded Reload
	;; [unrolled: 6-line block ×3, first 2 shown]
	buffer_load_dword v12, off, s[64:67], 0 offset:616 ; 4-byte Folded Reload
	buffer_load_dword v13, off, s[64:67], 0 offset:620 ; 4-byte Folded Reload
	;; [unrolled: 1-line block ×4, first 2 shown]
	v_add_f64 v[2:3], v[8:9], v[2:3]
	v_mul_f64 v[8:9], v[46:47], s[2:3]
	v_add_f64 v[8:9], v[8:9], v[64:65]
	s_waitcnt vmcnt(4)
	v_add_f64 v[6:7], v[6:7], v[10:11]
	v_mul_f64 v[10:11], v[237:238], s[26:27]
	v_add_f64 v[2:3], v[6:7], v[2:3]
	v_mul_f64 v[6:7], v[227:228], s[16:17]
	v_add_f64 v[4:5], v[58:59], -v[10:11]
	v_mul_f64 v[10:11], v[223:224], s[22:23]
	v_add_f64 v[64:65], v[8:9], v[2:3]
	v_add_f64 v[6:7], v[22:23], -v[6:7]
	buffer_load_dword v22, off, s[64:67], 0 offset:296 ; 4-byte Folded Reload
	buffer_load_dword v23, off, s[64:67], 0 offset:300 ; 4-byte Folded Reload
	v_mul_f64 v[2:3], v[243:244], s[44:45]
	v_mul_f64 v[8:9], v[235:236], s[38:39]
	v_add_f64 v[10:11], v[10:11], v[26:27]
	v_add_f64 v[6:7], v[110:111], v[6:7]
	s_waitcnt vmcnt(4)
	v_add_f64 v[2:3], v[12:13], -v[2:3]
	v_mul_f64 v[12:13], v[186:187], s[52:53]
	s_waitcnt vmcnt(2)
	v_add_f64 v[8:9], v[14:15], -v[8:9]
	v_mul_f64 v[14:15], v[231:232], s[24:25]
	v_add_f64 v[0:1], v[10:11], v[0:1]
	v_mul_f64 v[10:11], v[237:238], s[20:21]
	v_add_f64 v[4:5], v[4:5], v[6:7]
	;; [unrolled: 2-line block ×3, first 2 shown]
	v_add_f64 v[2:3], v[2:3], v[4:5]
	v_mul_f64 v[4:5], v[190:191], s[40:41]
	v_add_f64 v[0:1], v[14:15], v[0:1]
	v_mul_f64 v[14:15], v[243:244], s[26:27]
	;; [unrolled: 2-line block ×3, first 2 shown]
	s_waitcnt vmcnt(0)
	v_add_f64 v[12:13], v[22:23], -v[12:13]
	buffer_load_dword v22, off, s[64:67], 0 offset:336 ; 4-byte Folded Reload
	buffer_load_dword v23, off, s[64:67], 0 offset:340 ; 4-byte Folded Reload
	v_add_f64 v[2:3], v[12:13], v[2:3]
	v_mul_f64 v[12:13], v[50:51], s[46:47]
	s_waitcnt vmcnt(0)
	v_add_f64 v[4:5], v[22:23], -v[4:5]
	buffer_load_dword v22, off, s[64:67], 0 offset:224 ; 4-byte Folded Reload
	buffer_load_dword v23, off, s[64:67], 0 offset:228 ; 4-byte Folded Reload
	;; [unrolled: 1-line block ×4, first 2 shown]
	v_add_f64 v[2:3], v[4:5], v[2:3]
	v_mul_f64 v[4:5], v[194:195], s[18:19]
	s_waitcnt vmcnt(2)
	v_add_f64 v[68:69], v[68:69], v[22:23]
	s_waitcnt vmcnt(0)
	v_add_f64 v[8:9], v[20:21], -v[8:9]
	buffer_load_dword v22, off, s[64:67], 0 offset:280 ; 4-byte Folded Reload
	buffer_load_dword v23, off, s[64:67], 0 offset:284 ; 4-byte Folded Reload
	;; [unrolled: 1-line block ×4, first 2 shown]
	v_add_f64 v[0:1], v[68:69], v[0:1]
	v_add_f64 v[2:3], v[8:9], v[2:3]
	v_mul_f64 v[68:69], v[235:236], s[28:29]
	v_mul_f64 v[8:9], v[184:185], s[30:31]
	s_waitcnt vmcnt(2)
	v_add_f64 v[72:73], v[72:73], v[22:23]
	s_waitcnt vmcnt(0)
	v_add_f64 v[12:13], v[20:21], -v[12:13]
	buffer_load_dword v22, off, s[64:67], 0 offset:320 ; 4-byte Folded Reload
	buffer_load_dword v23, off, s[64:67], 0 offset:324 ; 4-byte Folded Reload
	;; [unrolled: 1-line block ×4, first 2 shown]
	v_add_f64 v[0:1], v[72:73], v[0:1]
	v_mul_f64 v[72:73], v[190:191], s[38:39]
	s_waitcnt vmcnt(2)
	v_add_f64 v[76:77], v[76:77], v[22:23]
	s_waitcnt vmcnt(0)
	v_add_f64 v[4:5], v[4:5], v[20:21]
	buffer_load_dword v20, off, s[64:67], 0 offset:352 ; 4-byte Folded Reload
	buffer_load_dword v21, off, s[64:67], 0 offset:356 ; 4-byte Folded Reload
	;; [unrolled: 1-line block ×4, first 2 shown]
	v_mul_f64 v[22:23], v[50:51], s[42:43]
	v_add_f64 v[0:1], v[76:77], v[0:1]
	v_mul_f64 v[76:77], v[198:199], s[54:55]
	v_add_f64 v[4:5], v[4:5], v[0:1]
	s_waitcnt vmcnt(2)
	v_add_f64 v[54:55], v[20:21], -v[54:55]
	s_waitcnt vmcnt(0)
	v_add_f64 v[18:19], v[18:19], v[24:25]
	buffer_load_dword v24, off, s[64:67], 0 offset:360 ; 4-byte Folded Reload
	buffer_load_dword v25, off, s[64:67], 0 offset:364 ; 4-byte Folded Reload
	;; [unrolled: 1-line block ×4, first 2 shown]
	v_mul_f64 v[20:21], v[194:195], s[10:11]
	v_add_f64 v[26:27], v[110:111], v[54:55]
	v_add_f64 v[54:55], v[12:13], v[2:3]
	buffer_load_dword v2, off, s[64:67], 0 offset:568 ; 4-byte Folded Reload
	buffer_load_dword v3, off, s[64:67], 0 offset:572 ; 4-byte Folded Reload
	s_waitcnt vmcnt(4)
	v_add_f64 v[10:11], v[24:25], -v[10:11]
	s_waitcnt vmcnt(2)
	v_add_f64 v[0:1], v[0:1], -v[22:23]
	v_mul_f64 v[24:25], v[46:47], s[34:35]
	s_waitcnt vmcnt(0)
	v_add_f64 v[2:3], v[6:7], v[2:3]
	buffer_load_dword v6, off, s[64:67], 0 offset:328 ; 4-byte Folded Reload
	buffer_load_dword v7, off, s[64:67], 0 offset:332 ; 4-byte Folded Reload
	;; [unrolled: 1-line block ×4, first 2 shown]
	v_add_f64 v[10:11], v[10:11], v[26:27]
	buffer_load_dword v22, off, s[64:67], 0 offset:256 ; 4-byte Folded Reload
	buffer_load_dword v23, off, s[64:67], 0 offset:260 ; 4-byte Folded Reload
	;; [unrolled: 1-line block ×4, first 2 shown]
	v_add_f64 v[2:3], v[108:109], v[2:3]
	s_waitcnt vmcnt(6)
	v_add_f64 v[6:7], v[6:7], -v[76:77]
	s_waitcnt vmcnt(4)
	v_add_f64 v[12:13], v[12:13], -v[14:15]
	v_mul_f64 v[14:15], v[227:228], s[40:41]
	s_waitcnt vmcnt(2)
	v_add_f64 v[22:23], v[22:23], -v[72:73]
	s_waitcnt vmcnt(0)
	v_add_f64 v[16:17], v[26:27], -v[16:17]
	buffer_load_dword v26, off, s[64:67], 0 offset:536 ; 4-byte Folded Reload
	buffer_load_dword v27, off, s[64:67], 0 offset:540 ; 4-byte Folded Reload
	;; [unrolled: 1-line block ×4, first 2 shown]
	v_mul_f64 v[72:73], v[237:238], s[8:9]
	v_add_f64 v[76:77], v[108:109], v[120:121]
	v_add_f64 v[10:11], v[12:13], v[10:11]
	buffer_load_dword v12, off, s[64:67], 0 offset:544 ; 4-byte Folded Reload
	buffer_load_dword v13, off, s[64:67], 0 offset:548 ; 4-byte Folded Reload
	v_fma_f64 v[120:121], v[225:226], s[2:3], v[72:73]
	v_add_f64 v[76:77], v[116:117], v[76:77]
	v_fma_f64 v[72:73], v[225:226], s[2:3], -v[72:73]
	v_add_f64 v[76:77], v[136:137], v[76:77]
	s_waitcnt vmcnt(4)
	v_add_f64 v[26:27], v[70:71], v[26:27]
	s_waitcnt vmcnt(2)
	v_add_f64 v[68:69], v[56:57], -v[68:69]
	buffer_load_dword v56, off, s[64:67], 0 offset:496 ; 4-byte Folded Reload
	buffer_load_dword v57, off, s[64:67], 0 offset:500 ; 4-byte Folded Reload
	v_fma_f64 v[70:71], v[219:220], s[34:35], v[14:15]
	v_fma_f64 v[14:15], v[219:220], s[34:35], -v[14:15]
	s_waitcnt vmcnt(2)
	v_add_f64 v[12:13], v[74:75], v[12:13]
	v_add_f64 v[74:75], v[110:111], v[122:123]
	;; [unrolled: 1-line block ×4, first 2 shown]
	v_mul_f64 v[26:27], v[243:244], s[16:17]
	v_add_f64 v[70:71], v[110:111], v[70:71]
	v_add_f64 v[14:15], v[110:111], v[14:15]
	;; [unrolled: 1-line block ×5, first 2 shown]
	buffer_load_dword v16, off, s[64:67], 0 offset:504 ; 4-byte Folded Reload
	buffer_load_dword v17, off, s[64:67], 0 offset:508 ; 4-byte Folded Reload
	v_mul_f64 v[12:13], v[235:236], s[20:21]
	v_add_f64 v[70:71], v[120:121], v[70:71]
	v_add_f64 v[14:15], v[72:73], v[14:15]
	;; [unrolled: 1-line block ×4, first 2 shown]
	buffer_load_dword v22, off, s[64:67], 0 offset:488 ; 4-byte Folded Reload
	buffer_load_dword v23, off, s[64:67], 0 offset:492 ; 4-byte Folded Reload
	v_fma_f64 v[116:117], v[249:250], s[18:19], v[12:13]
	v_fma_f64 v[12:13], v[249:250], s[18:19], -v[12:13]
	v_add_f64 v[6:7], v[6:7], v[10:11]
	buffer_load_dword v10, off, s[64:67], 0 offset:248 ; 4-byte Folded Reload
	buffer_load_dword v11, off, s[64:67], 0 offset:252 ; 4-byte Folded Reload
	s_waitcnt vmcnt(6)
	v_add_f64 v[68:69], v[78:79], v[56:57]
	v_fma_f64 v[78:79], v[233:234], s[10:11], v[26:27]
	v_fma_f64 v[26:27], v[233:234], s[10:11], -v[26:27]
	v_add_f64 v[2:3], v[68:69], v[2:3]
	v_mul_f64 v[68:69], v[186:187], s[56:57]
	v_add_f64 v[70:71], v[78:79], v[70:71]
	v_mul_f64 v[78:79], v[253:254], s[20:21]
	v_add_f64 v[14:15], v[26:27], v[14:15]
	s_waitcnt vmcnt(4)
	v_add_f64 v[16:17], v[200:201], v[16:17]
	v_add_f64 v[70:71], v[116:117], v[70:71]
	v_mul_f64 v[116:117], v[239:240], s[16:17]
	v_fma_f64 v[26:27], v[247:248], s[18:19], v[78:79]
	v_fma_f64 v[78:79], v[247:248], s[18:19], -v[78:79]
	v_add_f64 v[12:13], v[12:13], v[14:15]
	s_waitcnt vmcnt(2)
	v_add_f64 v[8:9], v[8:9], v[22:23]
	v_add_f64 v[22:23], v[114:115], v[74:75]
	;; [unrolled: 1-line block ×3, first 2 shown]
	v_fma_f64 v[76:77], v[251:252], s[30:31], v[68:69]
	v_add_f64 v[2:3], v[16:17], v[2:3]
	v_mul_f64 v[112:113], v[229:230], s[8:9]
	v_mul_f64 v[16:17], v[190:191], s[26:27]
	v_fma_f64 v[72:73], v[231:232], s[10:11], v[116:117]
	s_waitcnt vmcnt(0)
	v_add_f64 v[10:11], v[20:21], v[10:11]
	v_add_f64 v[20:21], v[130:131], v[22:23]
	;; [unrolled: 1-line block ×5, first 2 shown]
	buffer_load_dword v0, off, s[64:67], 0 offset:304 ; 4-byte Folded Reload
	buffer_load_dword v1, off, s[64:67], 0 offset:308 ; 4-byte Folded Reload
	v_add_f64 v[2:3], v[8:9], v[2:3]
	v_fma_f64 v[110:111], v[223:224], s[2:3], v[112:113]
	v_fma_f64 v[74:75], v[188:189], s[22:23], v[16:17]
	v_fma_f64 v[112:113], v[223:224], s[2:3], -v[112:113]
	v_fma_f64 v[68:69], v[251:252], s[30:31], -v[68:69]
	v_mul_f64 v[8:9], v[198:199], s[46:47]
	v_fma_f64 v[16:17], v[188:189], s[22:23], -v[16:17]
	v_add_f64 v[10:11], v[10:11], v[2:3]
	v_mul_f64 v[2:3], v[50:51], s[28:29]
	v_mul_f64 v[50:51], v[52:53], s[28:29]
	;; [unrolled: 1-line block ×3, first 2 shown]
	v_add_f64 v[12:13], v[68:69], v[12:13]
	v_fma_f64 v[114:115], v[217:218], s[34:35], v[52:53]
	v_fma_f64 v[52:53], v[217:218], s[34:35], -v[52:53]
	v_add_f64 v[12:13], v[16:17], v[12:13]
	v_fma_f64 v[16:17], v[194:195], s[36:37], v[44:45]
	v_fma_f64 v[44:45], v[194:195], s[36:37], -v[44:45]
	v_add_f64 v[114:115], v[108:109], v[114:115]
	v_add_f64 v[52:53], v[108:109], v[52:53]
	;; [unrolled: 1-line block ×3, first 2 shown]
	v_fma_f64 v[110:111], v[231:232], s[10:11], -v[116:117]
	v_add_f64 v[52:53], v[112:113], v[52:53]
	v_add_f64 v[72:73], v[72:73], v[108:109]
	;; [unrolled: 1-line block ×5, first 2 shown]
	s_waitcnt vmcnt(0)
	v_add_f64 v[6:7], v[24:25], v[0:1]
	v_add_f64 v[24:25], v[74:75], v[76:77]
	v_mul_f64 v[76:77], v[241:242], s[56:57]
	v_mul_f64 v[74:75], v[192:193], s[26:27]
	v_add_f64 v[0:1], v[126:127], v[20:21]
	v_add_f64 v[20:21], v[124:125], v[22:23]
	v_fma_f64 v[22:23], v[196:197], s[36:37], v[8:9]
	v_fma_f64 v[8:9], v[196:197], s[36:37], -v[8:9]
	v_fma_f64 v[14:15], v[245:246], s[30:31], v[76:77]
	v_fma_f64 v[72:73], v[245:246], s[30:31], -v[76:77]
	v_fma_f64 v[68:69], v[184:185], s[22:23], v[74:75]
	v_add_f64 v[0:1], v[134:135], v[0:1]
	v_add_f64 v[22:23], v[22:23], v[24:25]
	;; [unrolled: 1-line block ×3, first 2 shown]
	v_fma_f64 v[12:13], v[46:47], s[24:25], v[50:51]
	v_fma_f64 v[24:25], v[46:47], s[24:25], -v[50:51]
	v_add_f64 v[14:15], v[14:15], v[26:27]
	v_fma_f64 v[26:27], v[184:185], s[22:23], -v[74:75]
	v_add_f64 v[52:53], v[72:73], v[52:53]
	v_add_f64 v[20:21], v[132:133], v[20:21]
	;; [unrolled: 1-line block ×6, first 2 shown]
	v_fma_f64 v[52:53], v[48:49], s[24:25], -v[2:3]
	v_add_f64 v[20:21], v[140:141], v[20:21]
	v_add_f64 v[0:1], v[150:151], v[0:1]
	;; [unrolled: 1-line block ×3, first 2 shown]
	v_fma_f64 v[16:17], v[48:49], s[24:25], v[2:3]
	buffer_load_dword v48, off, s[64:67], 0 ; 4-byte Folded Reload
	buffer_load_dword v49, off, s[64:67], 0 offset:4 ; 4-byte Folded Reload
	buffer_load_dword v50, off, s[64:67], 0 offset:8 ; 4-byte Folded Reload
	;; [unrolled: 1-line block ×3, first 2 shown]
	v_add_f64 v[26:27], v[44:45], v[26:27]
	v_add_f64 v[20:21], v[148:149], v[20:21]
	;; [unrolled: 1-line block ×6, first 2 shown]
	v_mul_lo_u16_e32 v4, 17, v255
	v_lshlrev_b32_e32 v4, 4, v4
	v_add_f64 v[20:21], v[156:157], v[20:21]
	v_add_f64 v[0:1], v[166:167], v[0:1]
	;; [unrolled: 1-line block ×11, first 2 shown]
	s_waitcnt vmcnt(0)
	v_add_f64 v[2:3], v[50:51], v[0:1]
	v_add_f64 v[0:1], v[48:49], v[20:21]
	ds_write_b128 v4, v[0:3]
	ds_write_b128 v4, v[44:47] offset:16
	ds_write_b128 v4, v[68:71] offset:32
	ds_write_b128 v4, v[52:55] offset:48
	ds_write_b128 v4, v[64:67] offset:64
	ds_write_b128 v4, v[212:215] offset:80
	ds_write_b128 v4, v[203:206] offset:96
	buffer_load_dword v206, off, s[64:67], 0 offset:416 ; 4-byte Folded Reload
	buffer_load_dword v207, off, s[64:67], 0 offset:420 ; 4-byte Folded Reload
	;; [unrolled: 1-line block ×6, first 2 shown]
	v_add_f64 v[50:51], v[16:17], v[22:23]
	v_mov_b32_e32 v16, v28
	v_add_f64 v[48:49], v[24:25], v[26:27]
	v_mov_b32_e32 v17, v29
	v_mov_b32_e32 v18, v30
	;; [unrolled: 1-line block ×15, first 2 shown]
	s_waitcnt vmcnt(0)
	ds_write_b128 v4, v[0:3] offset:112
	buffer_load_dword v0, off, s[64:67], 0 offset:456 ; 4-byte Folded Reload
	buffer_load_dword v1, off, s[64:67], 0 offset:460 ; 4-byte Folded Reload
	buffer_load_dword v2, off, s[64:67], 0 offset:464 ; 4-byte Folded Reload
	buffer_load_dword v3, off, s[64:67], 0 offset:468 ; 4-byte Folded Reload
	s_waitcnt vmcnt(0)
	ds_write_b128 v4, v[0:3] offset:128
	buffer_load_dword v0, off, s[64:67], 0 offset:440 ; 4-byte Folded Reload
	buffer_load_dword v1, off, s[64:67], 0 offset:444 ; 4-byte Folded Reload
	buffer_load_dword v2, off, s[64:67], 0 offset:448 ; 4-byte Folded Reload
	buffer_load_dword v3, off, s[64:67], 0 offset:452 ; 4-byte Folded Reload
	;; [unrolled: 6-line block ×4, first 2 shown]
	s_waitcnt vmcnt(0)
	ds_write_b128 v4, v[0:3] offset:176
	ds_write_b128 v4, v[208:211] offset:192
	buffer_load_dword v211, off, s[64:67], 0 offset:424 ; 4-byte Folded Reload
	buffer_load_dword v212, off, s[64:67], 0 offset:428 ; 4-byte Folded Reload
	;; [unrolled: 1-line block ×4, first 2 shown]
	ds_write_b128 v4, v[180:183] offset:208
	ds_write_b128 v4, v[176:179] offset:224
	;; [unrolled: 1-line block ×4, first 2 shown]
.LBB0_17:
	s_or_b64 exec, exec, s[48:49]
	s_waitcnt vmcnt(0) lgkmcnt(0)
	s_barrier
	ds_read_b128 v[0:3], v216 offset:2176
	ds_read_b128 v[44:47], v216 offset:4352
	ds_read_b128 v[48:51], v216
	ds_read_b128 v[52:55], v216 offset:6528
	buffer_load_dword v12, off, s[64:67], 0 offset:96 ; 4-byte Folded Reload
	buffer_load_dword v13, off, s[64:67], 0 offset:100 ; 4-byte Folded Reload
	;; [unrolled: 1-line block ×4, first 2 shown]
	s_mov_b32 s2, 0xe00740e9
	s_mov_b32 s3, 0x3fec55a7
	s_waitcnt lgkmcnt(3)
	v_mul_f64 v[4:5], v[62:63], v[2:3]
	v_mul_f64 v[6:7], v[62:63], v[0:1]
	s_mov_b32 s10, 0x4267c47c
	s_mov_b32 s20, 0x42a4c3d2
	;; [unrolled: 1-line block ×6, first 2 shown]
	v_fma_f64 v[20:21], v[60:61], v[0:1], v[4:5]
	v_fma_f64 v[22:23], v[60:61], v[2:3], -v[6:7]
	s_waitcnt lgkmcnt(0)
	v_mul_f64 v[4:5], v[34:35], v[54:55]
	v_mul_f64 v[6:7], v[34:35], v[52:53]
	ds_read_b128 v[0:3], v216 offset:8704
	ds_read_b128 v[58:61], v216 offset:10880
	s_mov_b32 s42, 0x4bc48dbf
	s_mov_b32 s11, 0xbfddbe06
	;; [unrolled: 1-line block ×5, first 2 shown]
	v_fma_f64 v[56:57], v[32:33], v[52:53], v[4:5]
	v_fma_f64 v[78:79], v[32:33], v[54:55], -v[6:7]
	s_mov_b32 s9, 0xbfefc445
	s_mov_b32 s27, 0xbfedeba7
	;; [unrolled: 1-line block ×23, first 2 shown]
	s_waitcnt vmcnt(0)
	v_mul_f64 v[8:9], v[14:15], v[46:47]
	v_mul_f64 v[10:11], v[14:15], v[44:45]
	s_waitcnt lgkmcnt(1)
	v_mul_f64 v[14:15], v[18:19], v[0:1]
	v_fma_f64 v[24:25], v[12:13], v[44:45], v[8:9]
	v_fma_f64 v[26:27], v[12:13], v[46:47], -v[10:11]
	ds_read_b128 v[44:47], v216 offset:13056
	ds_read_b128 v[62:65], v216 offset:15232
	;; [unrolled: 1-line block ×4, first 2 shown]
	buffer_load_dword v32, off, s[64:67], 0 offset:80 ; 4-byte Folded Reload
	buffer_load_dword v33, off, s[64:67], 0 offset:84 ; 4-byte Folded Reload
	;; [unrolled: 1-line block ×4, first 2 shown]
	v_add_f64 v[10:11], v[50:51], v[22:23]
	v_add_f64 v[8:9], v[48:49], v[20:21]
	v_mul_f64 v[12:13], v[18:19], v[2:3]
	v_fma_f64 v[108:109], v[16:17], v[2:3], -v[14:15]
	s_waitcnt lgkmcnt(3)
	v_mul_f64 v[14:15], v[38:39], v[44:45]
	s_waitcnt lgkmcnt(2)
	v_mul_f64 v[40:41], v[30:31], v[64:65]
	v_add_f64 v[6:7], v[10:11], v[26:27]
	v_add_f64 v[4:5], v[8:9], v[24:25]
	v_fma_f64 v[42:43], v[16:17], v[0:1], v[12:13]
	v_mul_f64 v[12:13], v[38:39], v[46:47]
	ds_read_b128 v[0:3], v216 offset:21760
	ds_read_b128 v[70:73], v216 offset:23936
	ds_read_b128 v[74:77], v216 offset:26112
	v_add_f64 v[6:7], v[6:7], v[78:79]
	v_add_f64 v[4:5], v[4:5], v[56:57]
	v_add_f64 v[6:7], v[6:7], v[108:109]
	v_add_f64 v[4:5], v[4:5], v[42:43]
	s_waitcnt vmcnt(0)
	v_mul_f64 v[8:9], v[34:35], v[60:61]
	v_mul_f64 v[10:11], v[34:35], v[58:59]
	v_fma_f64 v[16:17], v[32:33], v[58:59], v[8:9]
	v_fma_f64 v[18:19], v[32:33], v[60:61], -v[10:11]
	v_mul_f64 v[58:59], v[30:31], v[62:63]
	v_fma_f64 v[8:9], v[36:37], v[44:45], v[12:13]
	v_fma_f64 v[10:11], v[36:37], v[46:47], -v[14:15]
	buffer_load_dword v36, off, s[64:67], 0 offset:64 ; 4-byte Folded Reload
	buffer_load_dword v37, off, s[64:67], 0 offset:68 ; 4-byte Folded Reload
	buffer_load_dword v38, off, s[64:67], 0 offset:72 ; 4-byte Folded Reload
	buffer_load_dword v39, off, s[64:67], 0 offset:76 ; 4-byte Folded Reload
	buffer_load_dword v32, off, s[64:67], 0 offset:48 ; 4-byte Folded Reload
	buffer_load_dword v33, off, s[64:67], 0 offset:52 ; 4-byte Folded Reload
	buffer_load_dword v34, off, s[64:67], 0 offset:56 ; 4-byte Folded Reload
	buffer_load_dword v35, off, s[64:67], 0 offset:60 ; 4-byte Folded Reload
	s_waitcnt lgkmcnt(4)
	v_mul_f64 v[44:45], v[213:214], v[54:55]
	v_add_f64 v[4:5], v[4:5], v[16:17]
	v_add_f64 v[14:15], v[6:7], v[18:19]
	v_fma_f64 v[6:7], v[28:29], v[62:63], v[40:41]
	v_fma_f64 v[12:13], v[28:29], v[64:65], -v[58:59]
	buffer_load_dword v28, off, s[64:67], 0 offset:32 ; 4-byte Folded Reload
	buffer_load_dword v29, off, s[64:67], 0 offset:36 ; 4-byte Folded Reload
	;; [unrolled: 1-line block ×8, first 2 shown]
	v_mul_f64 v[46:47], v[213:214], v[52:53]
	s_waitcnt lgkmcnt(0)
	v_add_f64 v[40:41], v[4:5], v[8:9]
	v_add_f64 v[58:59], v[14:15], v[10:11]
	v_fma_f64 v[14:15], v[211:212], v[52:53], v[44:45]
	s_waitcnt vmcnt(0)
	s_barrier
	v_fma_f64 v[4:5], v[211:212], v[54:55], -v[46:47]
	v_add_f64 v[40:41], v[40:41], v[6:7]
	v_add_f64 v[44:45], v[58:59], v[12:13]
	v_mul_f64 v[60:61], v[38:39], v[68:69]
	v_mul_f64 v[38:39], v[38:39], v[66:67]
	;; [unrolled: 1-line block ×6, first 2 shown]
	v_fma_f64 v[54:55], v[36:37], v[66:67], v[60:61]
	v_fma_f64 v[46:47], v[32:33], v[76:77], -v[62:63]
	v_fma_f64 v[36:37], v[36:37], v[68:69], -v[38:39]
	v_add_f64 v[38:39], v[40:41], v[14:15]
	v_add_f64 v[40:41], v[44:45], v[4:5]
	v_mul_f64 v[52:53], v[112:113], v[72:73]
	v_fma_f64 v[32:33], v[32:33], v[74:75], v[34:35]
	v_mul_f64 v[34:35], v[112:113], v[70:71]
	v_fma_f64 v[58:59], v[28:29], v[0:1], v[64:65]
	v_add_f64 v[44:45], v[22:23], -v[46:47]
	v_add_f64 v[22:23], v[22:23], v[46:47]
	v_fma_f64 v[28:29], v[28:29], v[2:3], -v[30:31]
	v_add_f64 v[0:1], v[38:39], v[54:55]
	v_add_f64 v[2:3], v[40:41], v[36:37]
	;; [unrolled: 1-line block ×3, first 2 shown]
	v_add_f64 v[20:21], v[20:21], -v[32:33]
	v_fma_f64 v[52:53], v[110:111], v[70:71], v[52:53]
	v_fma_f64 v[34:35], v[110:111], v[72:73], -v[34:35]
	v_mul_f64 v[40:41], v[22:23], s[2:3]
	v_mul_f64 v[38:39], v[44:45], s[10:11]
	v_add_f64 v[0:1], v[0:1], v[58:59]
	v_add_f64 v[2:3], v[2:3], v[28:29]
	v_mul_f64 v[64:65], v[44:45], s[20:21]
	v_mul_f64 v[66:67], v[44:45], s[8:9]
	;; [unrolled: 1-line block ×4, first 2 shown]
	v_fma_f64 v[62:63], v[20:21], s[28:29], v[40:41]
	v_fma_f64 v[40:41], v[20:21], s[10:11], v[40:41]
	v_add_f64 v[0:1], v[0:1], v[52:53]
	v_add_f64 v[2:3], v[2:3], v[34:35]
	v_mul_f64 v[116:117], v[22:23], s[38:39]
	v_mul_f64 v[44:45], v[44:45], s[42:43]
	v_add_f64 v[124:125], v[26:27], v[34:35]
	v_add_f64 v[26:27], v[26:27], -v[34:35]
	v_fma_f64 v[60:61], v[30:31], s[2:3], v[38:39]
	v_fma_f64 v[38:39], v[30:31], s[2:3], -v[38:39]
	v_add_f64 v[0:1], v[0:1], v[32:33]
	v_add_f64 v[2:3], v[2:3], v[46:47]
	;; [unrolled: 1-line block ×3, first 2 shown]
	v_fma_f64 v[40:41], v[30:31], s[22:23], v[64:65]
	v_mul_f64 v[46:47], v[22:23], s[22:23]
	v_mul_f64 v[68:69], v[22:23], s[16:17]
	v_fma_f64 v[64:65], v[30:31], s[22:23], -v[64:65]
	v_fma_f64 v[72:73], v[30:31], s[16:17], v[66:67]
	v_fma_f64 v[66:67], v[30:31], s[16:17], -v[66:67]
	v_fma_f64 v[110:111], v[30:31], s[30:31], v[76:77]
	v_mul_f64 v[112:113], v[22:23], s[30:31]
	v_fma_f64 v[76:77], v[30:31], s[30:31], -v[76:77]
	v_fma_f64 v[120:121], v[30:31], s[38:39], v[114:115]
	v_fma_f64 v[122:123], v[20:21], s[40:41], v[116:117]
	v_fma_f64 v[114:115], v[30:31], s[38:39], -v[114:115]
	v_fma_f64 v[116:117], v[20:21], s[36:37], v[116:117]
	v_mul_f64 v[22:23], v[22:23], s[44:45]
	v_fma_f64 v[34:35], v[30:31], s[44:45], v[44:45]
	v_add_f64 v[126:127], v[24:25], v[52:53]
	v_add_f64 v[24:25], v[24:25], -v[52:53]
	v_mul_f64 v[52:53], v[26:27], s[20:21]
	v_mul_f64 v[128:129], v[124:125], s[22:23]
	v_fma_f64 v[30:31], v[30:31], s[44:45], -v[44:45]
	v_add_f64 v[60:61], v[48:49], v[60:61]
	v_add_f64 v[62:63], v[50:51], v[62:63]
	;; [unrolled: 1-line block ×3, first 2 shown]
	v_fma_f64 v[70:71], v[20:21], s[24:25], v[46:47]
	v_add_f64 v[40:41], v[48:49], v[40:41]
	v_fma_f64 v[46:47], v[20:21], s[20:21], v[46:47]
	v_fma_f64 v[74:75], v[20:21], s[18:19], v[68:69]
	v_add_f64 v[64:65], v[48:49], v[64:65]
	v_add_f64 v[72:73], v[48:49], v[72:73]
	v_fma_f64 v[68:69], v[20:21], s[8:9], v[68:69]
	v_fma_f64 v[118:119], v[20:21], s[34:35], v[112:113]
	;; [unrolled: 1-line block ×3, first 2 shown]
	v_add_f64 v[66:67], v[48:49], v[66:67]
	v_add_f64 v[110:111], v[48:49], v[110:111]
	;; [unrolled: 1-line block ×4, first 2 shown]
	v_fma_f64 v[130:131], v[20:21], s[46:47], v[22:23]
	v_fma_f64 v[20:21], v[20:21], s[42:43], v[22:23]
	v_add_f64 v[22:23], v[48:49], v[114:115]
	v_add_f64 v[44:45], v[50:51], v[116:117]
	v_fma_f64 v[114:115], v[126:127], s[22:23], v[52:53]
	v_fma_f64 v[116:117], v[24:25], s[24:25], v[128:129]
	v_add_f64 v[34:35], v[48:49], v[34:35]
	v_add_f64 v[30:31], v[48:49], v[30:31]
	v_mul_f64 v[48:49], v[26:27], s[26:27]
	v_add_f64 v[70:71], v[50:51], v[70:71]
	v_add_f64 v[46:47], v[50:51], v[46:47]
	;; [unrolled: 1-line block ×9, first 2 shown]
	v_mul_f64 v[50:51], v[124:125], s[30:31]
	v_add_f64 v[60:61], v[114:115], v[60:61]
	v_add_f64 v[62:63], v[116:117], v[62:63]
	v_fma_f64 v[52:53], v[126:127], s[22:23], -v[52:53]
	v_fma_f64 v[114:115], v[24:25], s[20:21], v[128:129]
	v_mul_f64 v[116:117], v[26:27], s[42:43]
	v_mul_f64 v[128:129], v[124:125], s[44:45]
	v_fma_f64 v[132:133], v[126:127], s[30:31], v[48:49]
	v_fma_f64 v[48:49], v[126:127], s[30:31], -v[48:49]
	v_fma_f64 v[134:135], v[24:25], s[34:35], v[50:51]
	v_fma_f64 v[50:51], v[24:25], s[26:27], v[50:51]
	v_add_f64 v[38:39], v[52:53], v[38:39]
	v_add_f64 v[32:33], v[114:115], v[32:33]
	v_fma_f64 v[52:53], v[126:127], s[44:45], v[116:117]
	v_fma_f64 v[114:115], v[24:25], s[46:47], v[128:129]
	v_fma_f64 v[116:117], v[126:127], s[44:45], -v[116:117]
	v_add_f64 v[48:49], v[48:49], v[64:65]
	v_mul_f64 v[64:65], v[124:125], s[38:39]
	v_add_f64 v[70:71], v[134:135], v[70:71]
	v_add_f64 v[46:47], v[50:51], v[46:47]
	v_mul_f64 v[50:51], v[26:27], s[40:41]
	v_add_f64 v[52:53], v[52:53], v[72:73]
	v_add_f64 v[72:73], v[114:115], v[74:75]
	v_mul_f64 v[74:75], v[26:27], s[18:19]
	v_mul_f64 v[114:115], v[124:125], s[16:17]
	v_fma_f64 v[134:135], v[24:25], s[36:37], v[64:65]
	v_add_f64 v[40:41], v[132:133], v[40:41]
	v_fma_f64 v[64:65], v[24:25], s[40:41], v[64:65]
	v_fma_f64 v[132:133], v[126:127], s[38:39], v[50:51]
	v_fma_f64 v[50:51], v[126:127], s[38:39], -v[50:51]
	v_add_f64 v[66:67], v[116:117], v[66:67]
	v_fma_f64 v[136:137], v[126:127], s[16:17], v[74:75]
	v_fma_f64 v[138:139], v[24:25], s[8:9], v[114:115]
	v_add_f64 v[116:117], v[134:135], v[118:119]
	v_add_f64 v[118:119], v[78:79], -v[28:29]
	v_add_f64 v[28:29], v[78:79], v[28:29]
	v_fma_f64 v[128:129], v[24:25], s[42:43], v[128:129]
	v_add_f64 v[50:51], v[50:51], v[76:77]
	v_add_f64 v[64:65], v[64:65], v[112:113]
	;; [unrolled: 1-line block ×4, first 2 shown]
	v_mul_f64 v[26:27], v[26:27], s[28:29]
	v_mul_f64 v[78:79], v[124:125], s[2:3]
	v_fma_f64 v[74:75], v[126:127], s[16:17], -v[74:75]
	v_add_f64 v[120:121], v[56:57], v[58:59]
	v_add_f64 v[56:57], v[56:57], -v[58:59]
	v_mul_f64 v[58:59], v[118:119], s[8:9]
	v_mul_f64 v[122:123], v[28:29], s[16:17]
	v_add_f64 v[68:69], v[128:129], v[68:69]
	v_fma_f64 v[114:115], v[24:25], s[18:19], v[114:115]
	v_fma_f64 v[124:125], v[126:127], s[2:3], v[26:27]
	;; [unrolled: 1-line block ×3, first 2 shown]
	v_fma_f64 v[26:27], v[126:127], s[2:3], -v[26:27]
	v_fma_f64 v[24:25], v[24:25], s[28:29], v[78:79]
	v_add_f64 v[22:23], v[74:75], v[22:23]
	v_fma_f64 v[74:75], v[120:121], s[16:17], v[58:59]
	v_fma_f64 v[78:79], v[56:57], s[18:19], v[122:123]
	v_fma_f64 v[58:59], v[120:121], s[16:17], -v[58:59]
	v_add_f64 v[34:35], v[124:125], v[34:35]
	v_add_f64 v[44:45], v[114:115], v[44:45]
	;; [unrolled: 1-line block ×3, first 2 shown]
	v_mul_f64 v[30:31], v[28:29], s[44:45]
	v_add_f64 v[20:21], v[24:25], v[20:21]
	v_add_f64 v[60:61], v[74:75], v[60:61]
	;; [unrolled: 1-line block ×3, first 2 shown]
	v_fma_f64 v[74:75], v[56:57], s[8:9], v[122:123]
	v_mul_f64 v[78:79], v[118:119], s[34:35]
	v_mul_f64 v[122:123], v[28:29], s[30:31]
	;; [unrolled: 1-line block ×3, first 2 shown]
	v_fma_f64 v[126:127], v[56:57], s[46:47], v[30:31]
	v_fma_f64 v[30:31], v[56:57], s[42:43], v[30:31]
	v_add_f64 v[38:39], v[58:59], v[38:39]
	v_add_f64 v[114:115], v[128:129], v[130:131]
	;; [unrolled: 1-line block ×3, first 2 shown]
	v_fma_f64 v[58:59], v[120:121], s[30:31], v[78:79]
	v_fma_f64 v[74:75], v[56:57], s[26:27], v[122:123]
	;; [unrolled: 1-line block ×3, first 2 shown]
	v_fma_f64 v[24:25], v[120:121], s[44:45], -v[24:25]
	v_add_f64 v[30:31], v[30:31], v[46:47]
	v_mul_f64 v[46:47], v[118:119], s[28:29]
	v_add_f64 v[110:111], v[132:133], v[110:111]
	v_add_f64 v[70:71], v[126:127], v[70:71]
	;; [unrolled: 1-line block ×4, first 2 shown]
	v_mul_f64 v[72:73], v[118:119], s[20:21]
	v_add_f64 v[40:41], v[124:125], v[40:41]
	v_add_f64 v[24:25], v[24:25], v[48:49]
	v_mul_f64 v[48:49], v[28:29], s[2:3]
	v_mul_f64 v[74:75], v[28:29], s[22:23]
	v_fma_f64 v[124:125], v[120:121], s[2:3], v[46:47]
	v_fma_f64 v[46:47], v[120:121], s[2:3], -v[46:47]
	v_fma_f64 v[78:79], v[120:121], s[30:31], -v[78:79]
	v_fma_f64 v[128:129], v[120:121], s[22:23], v[72:73]
	v_fma_f64 v[122:123], v[56:57], s[34:35], v[122:123]
	v_mul_f64 v[28:29], v[28:29], s[38:39]
	v_fma_f64 v[126:127], v[56:57], s[10:11], v[48:49]
	v_fma_f64 v[48:49], v[56:57], s[28:29], v[48:49]
	;; [unrolled: 1-line block ×3, first 2 shown]
	v_add_f64 v[46:47], v[46:47], v[50:51]
	v_add_f64 v[66:67], v[78:79], v[66:67]
	;; [unrolled: 1-line block ×3, first 2 shown]
	v_add_f64 v[76:77], v[108:109], -v[36:37]
	v_add_f64 v[36:37], v[108:109], v[36:37]
	v_add_f64 v[78:79], v[124:125], v[110:111]
	v_add_f64 v[110:111], v[126:127], v[116:117]
	v_add_f64 v[48:49], v[48:49], v[64:65]
	v_add_f64 v[64:65], v[130:131], v[112:113]
	v_fma_f64 v[72:73], v[120:121], s[22:23], -v[72:73]
	v_add_f64 v[112:113], v[42:43], v[54:55]
	v_add_f64 v[42:43], v[42:43], -v[54:55]
	v_mul_f64 v[54:55], v[76:77], s[26:27]
	v_mul_f64 v[116:117], v[36:37], s[30:31]
	;; [unrolled: 1-line block ×3, first 2 shown]
	v_add_f64 v[68:69], v[122:123], v[68:69]
	v_fma_f64 v[74:75], v[56:57], s[20:21], v[74:75]
	v_fma_f64 v[122:123], v[56:57], s[40:41], v[28:29]
	;; [unrolled: 1-line block ×3, first 2 shown]
	v_add_f64 v[22:23], v[72:73], v[22:23]
	v_fma_f64 v[56:57], v[112:113], s[30:31], v[54:55]
	v_fma_f64 v[72:73], v[42:43], s[34:35], v[116:117]
	;; [unrolled: 1-line block ×3, first 2 shown]
	v_fma_f64 v[108:109], v[120:121], s[38:39], -v[108:109]
	v_add_f64 v[44:45], v[74:75], v[44:45]
	v_add_f64 v[74:75], v[122:123], v[114:115]
	v_fma_f64 v[54:55], v[112:113], s[30:31], -v[54:55]
	v_mul_f64 v[114:115], v[36:37], s[2:3]
	v_add_f64 v[56:57], v[56:57], v[60:61]
	v_add_f64 v[60:61], v[72:73], v[62:63]
	v_fma_f64 v[62:63], v[42:43], s[26:27], v[116:117]
	v_mul_f64 v[72:73], v[76:77], s[28:29]
	v_add_f64 v[26:27], v[108:109], v[26:27]
	v_add_f64 v[20:21], v[28:29], v[20:21]
	v_mul_f64 v[28:29], v[76:77], s[40:41]
	v_mul_f64 v[108:109], v[36:37], s[38:39]
	v_add_f64 v[38:39], v[54:55], v[38:39]
	v_add_f64 v[34:35], v[118:119], v[34:35]
	;; [unrolled: 1-line block ×3, first 2 shown]
	v_fma_f64 v[54:55], v[112:113], s[2:3], v[72:73]
	v_fma_f64 v[62:63], v[42:43], s[10:11], v[114:115]
	;; [unrolled: 1-line block ×4, first 2 shown]
	v_fma_f64 v[28:29], v[112:113], s[38:39], -v[28:29]
	v_fma_f64 v[108:109], v[42:43], s[40:41], v[108:109]
	v_add_f64 v[52:53], v[54:55], v[52:53]
	v_add_f64 v[54:55], v[62:63], v[58:59]
	v_fma_f64 v[58:59], v[112:113], s[2:3], -v[72:73]
	v_mul_f64 v[72:73], v[76:77], s[46:47]
	v_fma_f64 v[62:63], v[42:43], s[28:29], v[114:115]
	v_add_f64 v[24:25], v[28:29], v[24:25]
	v_add_f64 v[28:29], v[108:109], v[30:31]
	v_mul_f64 v[30:31], v[76:77], s[8:9]
	v_mul_f64 v[108:109], v[36:37], s[16:17]
	;; [unrolled: 1-line block ×3, first 2 shown]
	v_add_f64 v[58:59], v[58:59], v[66:67]
	v_fma_f64 v[66:67], v[112:113], s[44:45], v[72:73]
	v_add_f64 v[40:41], v[116:117], v[40:41]
	v_add_f64 v[70:71], v[118:119], v[70:71]
	;; [unrolled: 1-line block ×3, first 2 shown]
	v_fma_f64 v[116:117], v[112:113], s[16:17], v[30:31]
	v_fma_f64 v[118:119], v[42:43], s[18:19], v[108:109]
	v_fma_f64 v[30:31], v[112:113], s[16:17], -v[30:31]
	v_fma_f64 v[108:109], v[42:43], s[8:9], v[108:109]
	v_fma_f64 v[68:69], v[42:43], s[42:43], v[114:115]
	v_mul_f64 v[36:37], v[36:37], s[22:23]
	v_add_f64 v[50:51], v[66:67], v[50:51]
	v_add_f64 v[66:67], v[18:19], -v[4:5]
	v_add_f64 v[4:5], v[18:19], v[4:5]
	v_fma_f64 v[18:19], v[112:113], s[44:45], -v[72:73]
	v_add_f64 v[30:31], v[30:31], v[46:47]
	v_add_f64 v[46:47], v[108:109], v[48:49]
	v_mul_f64 v[48:49], v[76:77], s[24:25]
	v_add_f64 v[64:65], v[68:69], v[64:65]
	v_fma_f64 v[68:69], v[42:43], s[46:47], v[114:115]
	v_fma_f64 v[76:77], v[42:43], s[20:21], v[36:37]
	v_add_f64 v[108:109], v[16:17], v[14:15]
	v_add_f64 v[14:15], v[16:17], -v[14:15]
	v_mul_f64 v[16:17], v[66:67], s[36:37]
	v_mul_f64 v[114:115], v[4:5], s[38:39]
	v_fma_f64 v[36:37], v[42:43], s[24:25], v[36:37]
	v_fma_f64 v[72:73], v[112:113], s[22:23], v[48:49]
	v_fma_f64 v[48:49], v[112:113], s[22:23], -v[48:49]
	v_add_f64 v[18:19], v[18:19], v[22:23]
	v_add_f64 v[22:23], v[68:69], v[44:45]
	v_add_f64 v[42:43], v[76:77], v[74:75]
	v_fma_f64 v[44:45], v[108:109], s[38:39], v[16:17]
	v_fma_f64 v[68:69], v[14:15], s[40:41], v[114:115]
	v_add_f64 v[20:21], v[36:37], v[20:21]
	v_mul_f64 v[36:37], v[66:67], s[18:19]
	v_add_f64 v[26:27], v[48:49], v[26:27]
	v_mul_f64 v[48:49], v[4:5], s[16:17]
	v_add_f64 v[34:35], v[72:73], v[34:35]
	v_fma_f64 v[16:17], v[108:109], s[38:39], -v[16:17]
	v_fma_f64 v[72:73], v[14:15], s[36:37], v[114:115]
	v_add_f64 v[44:45], v[44:45], v[56:57]
	v_add_f64 v[56:57], v[68:69], v[60:61]
	v_mul_f64 v[60:61], v[66:67], s[20:21]
	v_mul_f64 v[68:69], v[4:5], s[22:23]
	v_fma_f64 v[74:75], v[108:109], s[16:17], v[36:37]
	v_fma_f64 v[76:77], v[14:15], s[8:9], v[48:49]
	v_add_f64 v[16:17], v[16:17], v[38:39]
	v_add_f64 v[32:33], v[72:73], v[32:33]
	v_fma_f64 v[36:37], v[108:109], s[16:17], -v[36:37]
	v_fma_f64 v[38:39], v[14:15], s[18:19], v[48:49]
	v_fma_f64 v[48:49], v[108:109], s[22:23], v[60:61]
	;; [unrolled: 1-line block ×3, first 2 shown]
	v_add_f64 v[40:41], v[74:75], v[40:41]
	v_mul_f64 v[74:75], v[66:67], s[46:47]
	v_add_f64 v[70:71], v[76:77], v[70:71]
	v_mul_f64 v[76:77], v[4:5], s[44:45]
	v_add_f64 v[36:37], v[36:37], v[24:25]
	v_add_f64 v[38:39], v[38:39], v[28:29]
	;; [unrolled: 1-line block ×4, first 2 shown]
	v_fma_f64 v[24:25], v[108:109], s[22:23], -v[60:61]
	v_fma_f64 v[28:29], v[14:15], s[20:21], v[68:69]
	v_fma_f64 v[54:55], v[108:109], s[44:45], v[74:75]
	v_mul_f64 v[68:69], v[66:67], s[28:29]
	v_mul_f64 v[72:73], v[4:5], s[2:3]
	v_fma_f64 v[74:75], v[108:109], s[44:45], -v[74:75]
	v_fma_f64 v[60:61], v[14:15], s[42:43], v[76:77]
	v_fma_f64 v[76:77], v[14:15], s[46:47], v[76:77]
	v_mul_f64 v[4:5], v[4:5], s[30:31]
	v_add_f64 v[78:79], v[116:117], v[78:79]
	v_add_f64 v[110:111], v[118:119], v[110:111]
	;; [unrolled: 1-line block ×4, first 2 shown]
	v_fma_f64 v[24:25], v[108:109], s[2:3], v[68:69]
	v_fma_f64 v[28:29], v[14:15], s[10:11], v[72:73]
	v_add_f64 v[74:75], v[74:75], v[30:31]
	v_fma_f64 v[30:31], v[108:109], s[2:3], -v[68:69]
	v_fma_f64 v[68:69], v[14:15], s[28:29], v[72:73]
	v_mul_f64 v[66:67], v[66:67], s[26:27]
	v_add_f64 v[72:73], v[10:11], -v[12:13]
	v_add_f64 v[46:47], v[76:77], v[46:47]
	v_add_f64 v[76:77], v[10:11], v[12:13]
	v_fma_f64 v[12:13], v[14:15], s[34:35], v[4:5]
	v_add_f64 v[54:55], v[54:55], v[78:79]
	v_add_f64 v[60:61], v[60:61], v[110:111]
	;; [unrolled: 1-line block ×3, first 2 shown]
	v_fma_f64 v[10:11], v[108:109], s[30:31], v[66:67]
	v_add_f64 v[110:111], v[8:9], -v[6:7]
	v_mul_f64 v[6:7], v[72:73], s[42:43]
	v_add_f64 v[68:69], v[68:69], v[22:23]
	v_fma_f64 v[22:23], v[108:109], s[30:31], -v[66:67]
	v_fma_f64 v[4:5], v[14:15], s[26:27], v[4:5]
	v_add_f64 v[108:109], v[12:13], v[42:43]
	v_mul_f64 v[12:13], v[76:77], s[2:3]
	v_mul_f64 v[8:9], v[76:77], s[44:45]
	v_add_f64 v[66:67], v[10:11], v[34:35]
	v_mul_f64 v[10:11], v[72:73], s[28:29]
	v_fma_f64 v[14:15], v[78:79], s[44:45], v[6:7]
	v_add_f64 v[112:113], v[22:23], v[26:27]
	v_add_f64 v[114:115], v[4:5], v[20:21]
	v_fma_f64 v[4:5], v[78:79], s[44:45], -v[6:7]
	v_fma_f64 v[20:21], v[110:111], s[10:11], v[12:13]
	v_mul_f64 v[22:23], v[76:77], s[38:39]
	v_add_f64 v[50:51], v[24:25], v[50:51]
	v_add_f64 v[64:65], v[28:29], v[64:65]
	v_fma_f64 v[28:29], v[110:111], s[46:47], v[8:9]
	v_fma_f64 v[6:7], v[110:111], s[42:43], v[8:9]
	;; [unrolled: 1-line block ×3, first 2 shown]
	v_add_f64 v[24:25], v[14:15], v[44:45]
	v_mul_f64 v[14:15], v[72:73], s[36:37]
	v_add_f64 v[18:19], v[30:31], v[18:19]
	v_add_f64 v[4:5], v[4:5], v[16:17]
	;; [unrolled: 1-line block ×3, first 2 shown]
	v_fma_f64 v[16:17], v[110:111], s[40:41], v[22:23]
	v_mul_f64 v[20:21], v[72:73], s[24:25]
	v_add_f64 v[26:27], v[28:29], v[56:57]
	v_add_f64 v[28:29], v[8:9], v[40:41]
	v_fma_f64 v[8:9], v[78:79], s[2:3], -v[10:11]
	v_fma_f64 v[10:11], v[110:111], s[28:29], v[12:13]
	v_fma_f64 v[12:13], v[78:79], s[38:39], v[14:15]
	v_mul_f64 v[40:41], v[76:77], s[22:23]
	v_fma_f64 v[14:15], v[78:79], s[38:39], -v[14:15]
	v_fma_f64 v[22:23], v[110:111], s[36:37], v[22:23]
	v_add_f64 v[34:35], v[16:17], v[52:53]
	v_fma_f64 v[16:17], v[78:79], s[22:23], v[20:21]
	v_add_f64 v[6:7], v[6:7], v[32:33]
	v_add_f64 v[10:11], v[10:11], v[38:39]
	;; [unrolled: 1-line block ×3, first 2 shown]
	v_fma_f64 v[38:39], v[110:111], s[20:21], v[40:41]
	v_add_f64 v[12:13], v[14:15], v[58:59]
	v_add_f64 v[14:15], v[22:23], v[62:63]
	v_fma_f64 v[22:23], v[110:111], s[24:25], v[40:41]
	v_mul_f64 v[40:41], v[72:73], s[26:27]
	v_mul_f64 v[42:43], v[76:77], s[30:31]
	v_add_f64 v[8:9], v[8:9], v[36:37]
	v_add_f64 v[36:37], v[16:17], v[54:55]
	v_mul_f64 v[16:17], v[72:73], s[18:19]
	v_mul_f64 v[44:45], v[76:77], s[16:17]
	v_add_f64 v[38:39], v[38:39], v[60:61]
	v_add_f64 v[22:23], v[22:23], v[46:47]
	v_fma_f64 v[46:47], v[78:79], s[30:31], v[40:41]
	v_fma_f64 v[48:49], v[110:111], s[34:35], v[42:43]
	v_fma_f64 v[20:21], v[78:79], s[22:23], -v[20:21]
	v_fma_f64 v[52:53], v[78:79], s[30:31], -v[40:41]
	v_fma_f64 v[56:57], v[78:79], s[16:17], v[16:17]
	v_fma_f64 v[58:59], v[110:111], s[8:9], v[44:45]
	v_fma_f64 v[60:61], v[78:79], s[16:17], -v[16:17]
	v_fma_f64 v[62:63], v[110:111], s[18:19], v[44:45]
	v_fma_f64 v[54:55], v[110:111], s[26:27], v[42:43]
	v_add_f64 v[40:41], v[46:47], v[50:51]
	v_add_f64 v[42:43], v[48:49], v[64:65]
	;; [unrolled: 1-line block ×9, first 2 shown]
	ds_write_b128 v202, v[0:3]
	ds_write_b128 v202, v[24:27] offset:272
	ds_write_b128 v202, v[28:31] offset:544
	;; [unrolled: 1-line block ×12, first 2 shown]
	s_waitcnt lgkmcnt(0)
	s_barrier
	ds_read_b128 v[0:3], v216
	ds_read_b128 v[60:63], v216 offset:3536
	ds_read_b128 v[56:59], v216 offset:7072
	;; [unrolled: 1-line block ×7, first 2 shown]
	s_and_saveexec_b64 s[2:3], s[0:1]
	s_cbranch_execz .LBB0_19
; %bb.18:
	ds_read_b128 v[16:19], v216 offset:2176
	ds_read_b128 v[20:23], v216 offset:5712
	;; [unrolled: 1-line block ×8, first 2 shown]
.LBB0_19:
	s_or_b64 exec, exec, s[2:3]
	s_waitcnt lgkmcnt(6)
	v_mul_f64 v[44:45], v[106:107], v[62:63]
	v_mul_f64 v[46:47], v[106:107], v[60:61]
	s_waitcnt lgkmcnt(5)
	v_mul_f64 v[48:49], v[102:103], v[58:59]
	v_mul_f64 v[50:51], v[102:103], v[56:57]
	;; [unrolled: 3-line block ×4, first 2 shown]
	v_fma_f64 v[44:45], v[104:105], v[60:61], v[44:45]
	v_fma_f64 v[46:47], v[104:105], v[62:63], -v[46:47]
	v_fma_f64 v[48:49], v[100:101], v[56:57], v[48:49]
	v_fma_f64 v[50:51], v[100:101], v[58:59], -v[50:51]
	;; [unrolled: 2-line block ×3, first 2 shown]
	v_mul_f64 v[52:53], v[90:91], v[34:35]
	v_mul_f64 v[54:55], v[90:91], v[32:33]
	;; [unrolled: 1-line block ×6, first 2 shown]
	v_fma_f64 v[28:29], v[80:81], v[28:29], v[64:65]
	v_fma_f64 v[30:31], v[80:81], v[30:31], -v[66:67]
	v_fma_f64 v[32:33], v[88:89], v[32:33], v[52:53]
	v_fma_f64 v[34:35], v[88:89], v[34:35], -v[54:55]
	;; [unrolled: 2-line block ×4, first 2 shown]
	v_add_f64 v[28:29], v[40:41], -v[28:29]
	v_add_f64 v[30:31], v[42:43], -v[30:31]
	;; [unrolled: 1-line block ×8, first 2 shown]
	v_fma_f64 v[40:41], v[40:41], 2.0, -v[28:29]
	v_fma_f64 v[42:43], v[42:43], 2.0, -v[30:31]
	;; [unrolled: 1-line block ×8, first 2 shown]
	v_add_f64 v[52:53], v[32:33], v[38:39]
	v_add_f64 v[54:55], v[34:35], -v[36:37]
	v_add_f64 v[36:37], v[24:25], v[30:31]
	v_add_f64 v[38:39], v[26:27], -v[28:29]
	v_add_f64 v[48:49], v[0:1], -v[48:49]
	;; [unrolled: 1-line block ×5, first 2 shown]
	v_fma_f64 v[40:41], v[32:33], 2.0, -v[52:53]
	v_fma_f64 v[42:43], v[34:35], 2.0, -v[54:55]
	;; [unrolled: 1-line block ×4, first 2 shown]
	s_mov_b32 s2, 0x667f3bcd
	v_fma_f64 v[56:57], v[0:1], 2.0, -v[48:49]
	v_fma_f64 v[58:59], v[2:3], 2.0, -v[50:51]
	;; [unrolled: 1-line block ×4, first 2 shown]
	s_mov_b32 s3, 0xbfe6a09e
	v_fma_f64 v[26:27], v[32:33], s[2:3], v[40:41]
	v_fma_f64 v[34:35], v[24:25], s[2:3], v[42:43]
	s_mov_b32 s9, 0x3fe6a09e
	s_mov_b32 s8, s2
	v_fma_f64 v[44:45], v[36:37], s[8:9], v[52:53]
	v_fma_f64 v[46:47], v[38:39], s[8:9], v[54:55]
	v_add_f64 v[0:1], v[56:57], -v[0:1]
	v_add_f64 v[2:3], v[58:59], -v[2:3]
	v_fma_f64 v[24:25], v[24:25], s[8:9], v[26:27]
	v_fma_f64 v[26:27], v[32:33], s[2:3], v[34:35]
	v_add_f64 v[28:29], v[48:49], v[28:29]
	v_add_f64 v[30:31], v[50:51], -v[30:31]
	v_fma_f64 v[32:33], v[38:39], s[8:9], v[44:45]
	v_fma_f64 v[34:35], v[36:37], s[2:3], v[46:47]
	v_fma_f64 v[36:37], v[56:57], 2.0, -v[0:1]
	v_fma_f64 v[38:39], v[58:59], 2.0, -v[2:3]
	;; [unrolled: 1-line block ×8, first 2 shown]
	ds_write_b128 v216, v[36:39]
	ds_write_b128 v216, v[40:43] offset:3536
	ds_write_b128 v216, v[44:47] offset:7072
	;; [unrolled: 1-line block ×7, first 2 shown]
	s_and_saveexec_b64 s[10:11], s[0:1]
	s_cbranch_execz .LBB0_21
; %bb.20:
	buffer_load_dword v44, off, s[64:67], 0 offset:128 ; 4-byte Folded Reload
	buffer_load_dword v45, off, s[64:67], 0 offset:132 ; 4-byte Folded Reload
	;; [unrolled: 1-line block ×28, first 2 shown]
	s_waitcnt vmcnt(24)
	v_mul_f64 v[0:1], v[46:47], v[4:5]
	s_waitcnt vmcnt(20)
	v_mul_f64 v[2:3], v[50:51], v[14:15]
	;; [unrolled: 2-line block ×7, first 2 shown]
	v_mul_f64 v[34:35], v[66:67], v[22:23]
	v_fma_f64 v[0:1], v[44:45], v[6:7], -v[0:1]
	v_fma_f64 v[2:3], v[48:49], v[12:13], v[2:3]
	v_mul_f64 v[12:13], v[50:51], v[12:13]
	v_fma_f64 v[22:23], v[64:65], v[22:23], -v[26:27]
	v_fma_f64 v[26:27], v[56:57], v[182:183], -v[28:29]
	v_fma_f64 v[28:29], v[40:41], v[8:9], v[30:31]
	v_mul_f64 v[30:31], v[62:63], v[176:177]
	v_mul_f64 v[36:37], v[58:59], v[182:183]
	;; [unrolled: 1-line block ×5, first 2 shown]
	v_fma_f64 v[24:25], v[60:61], v[176:177], v[24:25]
	v_fma_f64 v[32:33], v[52:53], v[172:173], v[32:33]
	;; [unrolled: 1-line block ×3, first 2 shown]
	v_fma_f64 v[12:13], v[48:49], v[14:15], -v[12:13]
	v_fma_f64 v[14:15], v[60:61], v[178:179], -v[30:31]
	v_fma_f64 v[30:31], v[56:57], v[180:181], v[36:37]
	v_fma_f64 v[4:5], v[44:45], v[4:5], v[6:7]
	v_fma_f64 v[6:7], v[40:41], v[10:11], -v[8:9]
	v_fma_f64 v[8:9], v[52:53], v[174:175], -v[38:39]
	v_add_f64 v[0:1], v[18:19], -v[0:1]
	v_add_f64 v[24:25], v[2:3], -v[24:25]
	;; [unrolled: 1-line block ×8, first 2 shown]
	v_fma_f64 v[18:19], v[18:19], 2.0, -v[0:1]
	v_add_f64 v[32:33], v[0:1], -v[24:25]
	v_fma_f64 v[22:23], v[22:23], 2.0, -v[26:27]
	v_add_f64 v[34:35], v[26:27], -v[10:11]
	v_fma_f64 v[12:13], v[12:13], 2.0, -v[14:15]
	v_fma_f64 v[20:21], v[20:21], 2.0, -v[30:31]
	;; [unrolled: 1-line block ×6, first 2 shown]
	v_add_f64 v[8:9], v[8:9], v[30:31]
	v_add_f64 v[36:37], v[14:15], v[4:5]
	v_add_f64 v[24:25], v[18:19], -v[12:13]
	v_fma_f64 v[28:29], v[0:1], 2.0, -v[32:33]
	v_fma_f64 v[0:1], v[26:27], 2.0, -v[34:35]
	v_add_f64 v[10:11], v[20:21], -v[10:11]
	v_add_f64 v[26:27], v[22:23], -v[6:7]
	;; [unrolled: 1-line block ×3, first 2 shown]
	v_fma_f64 v[12:13], v[30:31], 2.0, -v[8:9]
	v_fma_f64 v[40:41], v[4:5], 2.0, -v[36:37]
	;; [unrolled: 1-line block ×3, first 2 shown]
	v_fma_f64 v[2:3], v[34:35], s[8:9], v[32:33]
	v_fma_f64 v[4:5], v[0:1], s[2:3], v[28:29]
	v_fma_f64 v[18:19], v[20:21], 2.0, -v[10:11]
	v_fma_f64 v[14:15], v[22:23], 2.0, -v[26:27]
	;; [unrolled: 1-line block ×3, first 2 shown]
	v_fma_f64 v[22:23], v[8:9], s[8:9], v[36:37]
	v_fma_f64 v[20:21], v[12:13], s[2:3], v[40:41]
	v_add_f64 v[6:7], v[24:25], -v[10:11]
	v_fma_f64 v[2:3], v[8:9], s[2:3], v[2:3]
	v_fma_f64 v[10:11], v[12:13], s[2:3], v[4:5]
	v_add_f64 v[4:5], v[38:39], v[26:27]
	v_add_f64 v[14:15], v[30:31], -v[14:15]
	v_add_f64 v[12:13], v[16:17], -v[18:19]
	v_fma_f64 v[8:9], v[0:1], s[8:9], v[20:21]
	v_fma_f64 v[0:1], v[34:35], s[8:9], v[22:23]
	v_fma_f64 v[22:23], v[24:25], 2.0, -v[6:7]
	v_fma_f64 v[26:27], v[28:29], 2.0, -v[10:11]
	;; [unrolled: 1-line block ×8, first 2 shown]
	ds_write_b128 v216, v[28:31] offset:2176
	ds_write_b128 v216, v[24:27] offset:5712
	;; [unrolled: 1-line block ×8, first 2 shown]
.LBB0_21:
	s_or_b64 exec, exec, s[10:11]
	s_waitcnt lgkmcnt(0)
	s_barrier
	s_and_b64 exec, exec, vcc
	s_cbranch_execz .LBB0_23
; %bb.22:
	global_load_dwordx4 v[0:3], v216, s[12:13]
	ds_read_b128 v[4:7], v216
	v_mad_u64_u32 v[12:13], s[0:1], s6, v206, 0
	v_mad_u64_u32 v[14:15], s[0:1], s4, v255, 0
	ds_read_b128 v[8:11], v216 offset:1664
	ds_read_b128 v[16:19], v216 offset:26624
	s_mul_i32 s3, s5, 0x680
	v_mad_u64_u32 v[22:23], s[0:1], s7, v206, v[13:14]
	s_mul_hi_u32 s6, s4, 0x680
	s_waitcnt lgkmcnt(0)
	v_mad_u64_u32 v[23:24], s[0:1], s5, v255, v[15:16]
	s_mov_b32 s0, 0x1288b013
	s_mov_b32 s1, 0x3f4288b0
	v_mov_b32_e32 v13, v22
	v_mov_b32_e32 v15, v23
	s_mul_i32 s2, s4, 0x680
	s_add_i32 s3, s6, s3
	s_movk_i32 s6, 0x1000
	s_waitcnt vmcnt(0)
	v_mul_f64 v[20:21], v[6:7], v[2:3]
	v_mul_f64 v[2:3], v[4:5], v[2:3]
	v_fma_f64 v[4:5], v[4:5], v[0:1], v[20:21]
	v_fma_f64 v[2:3], v[0:1], v[6:7], -v[2:3]
	v_lshlrev_b64 v[6:7], 4, v[12:13]
	v_mov_b32_e32 v20, s15
	v_lshlrev_b64 v[12:13], 4, v[14:15]
	v_add_co_u32_e32 v22, vcc, s14, v6
	v_addc_co_u32_e32 v23, vcc, v20, v7, vcc
	v_mul_f64 v[0:1], v[4:5], s[0:1]
	v_mul_f64 v[2:3], v[2:3], s[0:1]
	v_add_co_u32_e32 v4, vcc, v22, v12
	v_addc_co_u32_e32 v5, vcc, v23, v13, vcc
	v_add_co_u32_e32 v12, vcc, s2, v4
	v_mov_b32_e32 v20, s13
	global_store_dwordx4 v[4:5], v[0:3], off
	global_load_dwordx4 v[0:3], v216, s[12:13] offset:1664
	s_waitcnt vmcnt(0)
	v_mul_f64 v[6:7], v[10:11], v[2:3]
	v_mul_f64 v[2:3], v[8:9], v[2:3]
	v_fma_f64 v[6:7], v[8:9], v[0:1], v[6:7]
	v_fma_f64 v[2:3], v[0:1], v[10:11], -v[2:3]
	v_mul_f64 v[0:1], v[6:7], s[0:1]
	v_mul_f64 v[2:3], v[2:3], s[0:1]
	v_mov_b32_e32 v6, s3
	v_addc_co_u32_e32 v13, vcc, v5, v6, vcc
	v_add_co_u32_e32 v24, vcc, s12, v216
	v_addc_co_u32_e32 v25, vcc, 0, v20, vcc
	global_store_dwordx4 v[12:13], v[0:3], off
	global_load_dwordx4 v[0:3], v216, s[12:13] offset:3328
	ds_read_b128 v[4:7], v216 offset:3328
	ds_read_b128 v[8:11], v216 offset:4992
	s_waitcnt vmcnt(0) lgkmcnt(1)
	v_mul_f64 v[14:15], v[6:7], v[2:3]
	v_mul_f64 v[2:3], v[4:5], v[2:3]
	v_fma_f64 v[4:5], v[4:5], v[0:1], v[14:15]
	v_fma_f64 v[2:3], v[0:1], v[6:7], -v[2:3]
	v_mov_b32_e32 v7, s3
	v_mul_f64 v[0:1], v[4:5], s[0:1]
	v_mul_f64 v[2:3], v[2:3], s[0:1]
	v_add_co_u32_e32 v4, vcc, s6, v24
	v_addc_co_u32_e32 v5, vcc, 0, v25, vcc
	v_add_co_u32_e32 v6, vcc, s2, v12
	v_addc_co_u32_e32 v7, vcc, v13, v7, vcc
	global_store_dwordx4 v[6:7], v[0:3], off
	global_load_dwordx4 v[0:3], v[4:5], off offset:896
	s_movk_i32 s6, 0x2000
	s_waitcnt vmcnt(0) lgkmcnt(0)
	v_mul_f64 v[12:13], v[10:11], v[2:3]
	v_mul_f64 v[2:3], v[8:9], v[2:3]
	v_fma_f64 v[8:9], v[8:9], v[0:1], v[12:13]
	v_fma_f64 v[2:3], v[0:1], v[10:11], -v[2:3]
	v_add_co_u32_e32 v12, vcc, s2, v6
	v_mul_f64 v[0:1], v[8:9], s[0:1]
	v_mul_f64 v[2:3], v[2:3], s[0:1]
	v_mov_b32_e32 v8, s3
	v_addc_co_u32_e32 v13, vcc, v7, v8, vcc
	global_store_dwordx4 v[12:13], v[0:3], off
	global_load_dwordx4 v[0:3], v[4:5], off offset:2560
	ds_read_b128 v[4:7], v216 offset:6656
	ds_read_b128 v[8:11], v216 offset:8320
	s_waitcnt vmcnt(0) lgkmcnt(1)
	v_mul_f64 v[14:15], v[6:7], v[2:3]
	v_mul_f64 v[2:3], v[4:5], v[2:3]
	v_fma_f64 v[4:5], v[4:5], v[0:1], v[14:15]
	v_fma_f64 v[2:3], v[0:1], v[6:7], -v[2:3]
	v_add_co_u32_e32 v14, vcc, s6, v24
	v_addc_co_u32_e32 v15, vcc, 0, v25, vcc
	v_mov_b32_e32 v6, s3
	s_movk_i32 s6, 0x3000
	v_mul_f64 v[0:1], v[4:5], s[0:1]
	v_mul_f64 v[2:3], v[2:3], s[0:1]
	v_add_co_u32_e32 v4, vcc, s2, v12
	v_addc_co_u32_e32 v5, vcc, v13, v6, vcc
	v_add_co_u32_e32 v12, vcc, s2, v4
	global_store_dwordx4 v[4:5], v[0:3], off
	global_load_dwordx4 v[0:3], v[14:15], off offset:128
	s_waitcnt vmcnt(0) lgkmcnt(0)
	v_mul_f64 v[6:7], v[10:11], v[2:3]
	v_mul_f64 v[2:3], v[8:9], v[2:3]
	v_fma_f64 v[6:7], v[8:9], v[0:1], v[6:7]
	v_fma_f64 v[2:3], v[0:1], v[10:11], -v[2:3]
	v_mul_f64 v[0:1], v[6:7], s[0:1]
	v_mul_f64 v[2:3], v[2:3], s[0:1]
	v_mov_b32_e32 v6, s3
	v_addc_co_u32_e32 v13, vcc, v5, v6, vcc
	global_store_dwordx4 v[12:13], v[0:3], off
	global_load_dwordx4 v[0:3], v[14:15], off offset:1792
	ds_read_b128 v[4:7], v216 offset:9984
	ds_read_b128 v[8:11], v216 offset:11648
	s_waitcnt vmcnt(0) lgkmcnt(1)
	v_mul_f64 v[20:21], v[6:7], v[2:3]
	v_mul_f64 v[2:3], v[4:5], v[2:3]
	v_fma_f64 v[4:5], v[4:5], v[0:1], v[20:21]
	v_fma_f64 v[2:3], v[0:1], v[6:7], -v[2:3]
	v_mul_f64 v[0:1], v[4:5], s[0:1]
	v_mul_f64 v[2:3], v[2:3], s[0:1]
	v_mov_b32_e32 v5, s3
	v_add_co_u32_e32 v4, vcc, s2, v12
	v_addc_co_u32_e32 v5, vcc, v13, v5, vcc
	v_add_co_u32_e32 v12, vcc, s6, v24
	global_store_dwordx4 v[4:5], v[0:3], off
	global_load_dwordx4 v[0:3], v[14:15], off offset:3456
	v_addc_co_u32_e32 v13, vcc, 0, v25, vcc
	v_add_co_u32_e32 v14, vcc, s2, v4
	s_movk_i32 s6, 0x4000
	s_waitcnt vmcnt(0) lgkmcnt(0)
	v_mul_f64 v[6:7], v[10:11], v[2:3]
	v_mul_f64 v[2:3], v[8:9], v[2:3]
	v_fma_f64 v[6:7], v[8:9], v[0:1], v[6:7]
	v_fma_f64 v[2:3], v[0:1], v[10:11], -v[2:3]
	v_mov_b32_e32 v8, s3
	v_addc_co_u32_e32 v15, vcc, v5, v8, vcc
	v_mul_f64 v[0:1], v[6:7], s[0:1]
	v_mul_f64 v[2:3], v[2:3], s[0:1]
	global_store_dwordx4 v[14:15], v[0:3], off
	global_load_dwordx4 v[0:3], v[12:13], off offset:1024
	ds_read_b128 v[4:7], v216 offset:13312
	ds_read_b128 v[8:11], v216 offset:14976
	s_waitcnt vmcnt(0) lgkmcnt(1)
	v_mul_f64 v[20:21], v[6:7], v[2:3]
	v_mul_f64 v[2:3], v[4:5], v[2:3]
	v_fma_f64 v[4:5], v[4:5], v[0:1], v[20:21]
	v_fma_f64 v[2:3], v[0:1], v[6:7], -v[2:3]
	v_mul_f64 v[0:1], v[4:5], s[0:1]
	v_mul_f64 v[2:3], v[2:3], s[0:1]
	v_mov_b32_e32 v5, s3
	v_add_co_u32_e32 v4, vcc, s2, v14
	v_addc_co_u32_e32 v5, vcc, v15, v5, vcc
	global_store_dwordx4 v[4:5], v[0:3], off
	global_load_dwordx4 v[0:3], v[12:13], off offset:2688
	v_add_co_u32_e32 v12, vcc, s6, v24
	v_addc_co_u32_e32 v13, vcc, 0, v25, vcc
	v_add_co_u32_e32 v14, vcc, s2, v4
	s_movk_i32 s6, 0x5000
	s_waitcnt vmcnt(0) lgkmcnt(0)
	v_mul_f64 v[6:7], v[10:11], v[2:3]
	v_mul_f64 v[2:3], v[8:9], v[2:3]
	v_fma_f64 v[6:7], v[8:9], v[0:1], v[6:7]
	v_fma_f64 v[2:3], v[0:1], v[10:11], -v[2:3]
	v_mov_b32_e32 v8, s3
	v_addc_co_u32_e32 v15, vcc, v5, v8, vcc
	v_mul_f64 v[0:1], v[6:7], s[0:1]
	v_mul_f64 v[2:3], v[2:3], s[0:1]
	global_store_dwordx4 v[14:15], v[0:3], off
	global_load_dwordx4 v[0:3], v[12:13], off offset:256
	ds_read_b128 v[4:7], v216 offset:16640
	ds_read_b128 v[8:11], v216 offset:18304
	s_waitcnt vmcnt(0) lgkmcnt(1)
	v_mul_f64 v[20:21], v[6:7], v[2:3]
	v_mul_f64 v[2:3], v[4:5], v[2:3]
	v_fma_f64 v[4:5], v[4:5], v[0:1], v[20:21]
	v_fma_f64 v[2:3], v[0:1], v[6:7], -v[2:3]
	v_mul_f64 v[0:1], v[4:5], s[0:1]
	v_mul_f64 v[2:3], v[2:3], s[0:1]
	v_mov_b32_e32 v5, s3
	v_add_co_u32_e32 v4, vcc, s2, v14
	v_addc_co_u32_e32 v5, vcc, v15, v5, vcc
	v_add_co_u32_e32 v14, vcc, s2, v4
	global_store_dwordx4 v[4:5], v[0:3], off
	global_load_dwordx4 v[0:3], v[12:13], off offset:1920
	s_waitcnt vmcnt(0) lgkmcnt(0)
	v_mul_f64 v[6:7], v[10:11], v[2:3]
	v_mul_f64 v[2:3], v[8:9], v[2:3]
	v_fma_f64 v[6:7], v[8:9], v[0:1], v[6:7]
	v_fma_f64 v[2:3], v[0:1], v[10:11], -v[2:3]
	v_mul_f64 v[0:1], v[6:7], s[0:1]
	v_mul_f64 v[2:3], v[2:3], s[0:1]
	v_mov_b32_e32 v6, s3
	v_addc_co_u32_e32 v15, vcc, v5, v6, vcc
	global_store_dwordx4 v[14:15], v[0:3], off
	global_load_dwordx4 v[0:3], v[12:13], off offset:3584
	ds_read_b128 v[4:7], v216 offset:19968
	ds_read_b128 v[8:11], v216 offset:21632
	s_waitcnt vmcnt(0) lgkmcnt(1)
	v_mul_f64 v[12:13], v[6:7], v[2:3]
	v_mul_f64 v[2:3], v[4:5], v[2:3]
	v_fma_f64 v[4:5], v[4:5], v[0:1], v[12:13]
	v_fma_f64 v[2:3], v[0:1], v[6:7], -v[2:3]
	v_mov_b32_e32 v7, s3
	v_mul_f64 v[0:1], v[4:5], s[0:1]
	v_mul_f64 v[2:3], v[2:3], s[0:1]
	v_add_co_u32_e32 v4, vcc, s6, v24
	v_addc_co_u32_e32 v5, vcc, 0, v25, vcc
	v_add_co_u32_e32 v6, vcc, s2, v14
	v_addc_co_u32_e32 v7, vcc, v15, v7, vcc
	global_store_dwordx4 v[6:7], v[0:3], off
	global_load_dwordx4 v[0:3], v[4:5], off offset:1152
	s_movk_i32 s6, 0x6000
	s_waitcnt vmcnt(0) lgkmcnt(0)
	v_mul_f64 v[12:13], v[10:11], v[2:3]
	v_mul_f64 v[2:3], v[8:9], v[2:3]
	v_fma_f64 v[8:9], v[8:9], v[0:1], v[12:13]
	v_fma_f64 v[2:3], v[0:1], v[10:11], -v[2:3]
	v_add_co_u32_e32 v12, vcc, s2, v6
	v_mul_f64 v[0:1], v[8:9], s[0:1]
	v_mul_f64 v[2:3], v[2:3], s[0:1]
	v_mov_b32_e32 v8, s3
	v_addc_co_u32_e32 v13, vcc, v7, v8, vcc
	global_store_dwordx4 v[12:13], v[0:3], off
	global_load_dwordx4 v[0:3], v[4:5], off offset:2816
	ds_read_b128 v[4:7], v216 offset:23296
	ds_read_b128 v[8:11], v216 offset:24960
	s_waitcnt vmcnt(0) lgkmcnt(1)
	v_mul_f64 v[14:15], v[6:7], v[2:3]
	v_mul_f64 v[2:3], v[4:5], v[2:3]
	v_fma_f64 v[4:5], v[4:5], v[0:1], v[14:15]
	v_fma_f64 v[2:3], v[0:1], v[6:7], -v[2:3]
	v_mov_b32_e32 v7, s3
	v_mul_f64 v[0:1], v[4:5], s[0:1]
	v_mul_f64 v[2:3], v[2:3], s[0:1]
	v_add_co_u32_e32 v4, vcc, s6, v24
	v_addc_co_u32_e32 v5, vcc, 0, v25, vcc
	v_add_co_u32_e32 v6, vcc, s2, v12
	v_addc_co_u32_e32 v7, vcc, v13, v7, vcc
	global_store_dwordx4 v[6:7], v[0:3], off
	global_load_dwordx4 v[0:3], v[4:5], off offset:384
	s_waitcnt vmcnt(0) lgkmcnt(0)
	v_mul_f64 v[4:5], v[10:11], v[2:3]
	v_mul_f64 v[2:3], v[8:9], v[2:3]
	v_fma_f64 v[4:5], v[8:9], v[0:1], v[4:5]
	v_fma_f64 v[2:3], v[0:1], v[10:11], -v[2:3]
	v_or_b32_e32 v8, 0x680, v255
	v_lshlrev_b32_e32 v9, 4, v8
	v_mul_f64 v[0:1], v[4:5], s[0:1]
	v_mul_f64 v[2:3], v[2:3], s[0:1]
	v_mov_b32_e32 v5, s3
	v_add_co_u32_e32 v4, vcc, s2, v6
	v_addc_co_u32_e32 v5, vcc, v7, v5, vcc
	v_mad_u64_u32 v[6:7], s[2:3], s4, v8, 0
	global_store_dwordx4 v[4:5], v[0:3], off
	global_load_dwordx4 v[0:3], v9, s[12:13]
	s_waitcnt vmcnt(0)
	v_mul_f64 v[4:5], v[18:19], v[2:3]
	v_mul_f64 v[2:3], v[16:17], v[2:3]
	v_fma_f64 v[4:5], v[16:17], v[0:1], v[4:5]
	v_fma_f64 v[2:3], v[0:1], v[18:19], -v[2:3]
	v_mov_b32_e32 v0, v7
	v_mad_u64_u32 v[7:8], s[2:3], s5, v8, v[0:1]
	v_mul_f64 v[0:1], v[4:5], s[0:1]
	v_mul_f64 v[2:3], v[2:3], s[0:1]
	v_lshlrev_b64 v[4:5], 4, v[6:7]
	v_add_co_u32_e32 v4, vcc, v22, v4
	v_addc_co_u32_e32 v5, vcc, v23, v5, vcc
	global_store_dwordx4 v[4:5], v[0:3], off
.LBB0_23:
	s_endpgm
	.section	.rodata,"a",@progbits
	.p2align	6, 0x0
	.amdhsa_kernel bluestein_single_back_len1768_dim1_dp_op_CI_CI
		.amdhsa_group_segment_fixed_size 28288
		.amdhsa_private_segment_fixed_size 652
		.amdhsa_kernarg_size 104
		.amdhsa_user_sgpr_count 6
		.amdhsa_user_sgpr_private_segment_buffer 1
		.amdhsa_user_sgpr_dispatch_ptr 0
		.amdhsa_user_sgpr_queue_ptr 0
		.amdhsa_user_sgpr_kernarg_segment_ptr 1
		.amdhsa_user_sgpr_dispatch_id 0
		.amdhsa_user_sgpr_flat_scratch_init 0
		.amdhsa_user_sgpr_private_segment_size 0
		.amdhsa_uses_dynamic_stack 0
		.amdhsa_system_sgpr_private_segment_wavefront_offset 1
		.amdhsa_system_sgpr_workgroup_id_x 1
		.amdhsa_system_sgpr_workgroup_id_y 0
		.amdhsa_system_sgpr_workgroup_id_z 0
		.amdhsa_system_sgpr_workgroup_info 0
		.amdhsa_system_vgpr_workitem_id 0
		.amdhsa_next_free_vgpr 256
		.amdhsa_next_free_sgpr 68
		.amdhsa_reserve_vcc 1
		.amdhsa_reserve_flat_scratch 0
		.amdhsa_float_round_mode_32 0
		.amdhsa_float_round_mode_16_64 0
		.amdhsa_float_denorm_mode_32 3
		.amdhsa_float_denorm_mode_16_64 3
		.amdhsa_dx10_clamp 1
		.amdhsa_ieee_mode 1
		.amdhsa_fp16_overflow 0
		.amdhsa_exception_fp_ieee_invalid_op 0
		.amdhsa_exception_fp_denorm_src 0
		.amdhsa_exception_fp_ieee_div_zero 0
		.amdhsa_exception_fp_ieee_overflow 0
		.amdhsa_exception_fp_ieee_underflow 0
		.amdhsa_exception_fp_ieee_inexact 0
		.amdhsa_exception_int_div_zero 0
	.end_amdhsa_kernel
	.text
.Lfunc_end0:
	.size	bluestein_single_back_len1768_dim1_dp_op_CI_CI, .Lfunc_end0-bluestein_single_back_len1768_dim1_dp_op_CI_CI
                                        ; -- End function
	.section	.AMDGPU.csdata,"",@progbits
; Kernel info:
; codeLenInByte = 34800
; NumSgprs: 72
; NumVgprs: 256
; ScratchSize: 652
; MemoryBound: 0
; FloatMode: 240
; IeeeMode: 1
; LDSByteSize: 28288 bytes/workgroup (compile time only)
; SGPRBlocks: 8
; VGPRBlocks: 63
; NumSGPRsForWavesPerEU: 72
; NumVGPRsForWavesPerEU: 256
; Occupancy: 1
; WaveLimiterHint : 1
; COMPUTE_PGM_RSRC2:SCRATCH_EN: 1
; COMPUTE_PGM_RSRC2:USER_SGPR: 6
; COMPUTE_PGM_RSRC2:TRAP_HANDLER: 0
; COMPUTE_PGM_RSRC2:TGID_X_EN: 1
; COMPUTE_PGM_RSRC2:TGID_Y_EN: 0
; COMPUTE_PGM_RSRC2:TGID_Z_EN: 0
; COMPUTE_PGM_RSRC2:TIDIG_COMP_CNT: 0
	.type	__hip_cuid_56df060c7cd7a732,@object ; @__hip_cuid_56df060c7cd7a732
	.section	.bss,"aw",@nobits
	.globl	__hip_cuid_56df060c7cd7a732
__hip_cuid_56df060c7cd7a732:
	.byte	0                               ; 0x0
	.size	__hip_cuid_56df060c7cd7a732, 1

	.ident	"AMD clang version 19.0.0git (https://github.com/RadeonOpenCompute/llvm-project roc-6.4.0 25133 c7fe45cf4b819c5991fe208aaa96edf142730f1d)"
	.section	".note.GNU-stack","",@progbits
	.addrsig
	.addrsig_sym __hip_cuid_56df060c7cd7a732
	.amdgpu_metadata
---
amdhsa.kernels:
  - .args:
      - .actual_access:  read_only
        .address_space:  global
        .offset:         0
        .size:           8
        .value_kind:     global_buffer
      - .actual_access:  read_only
        .address_space:  global
        .offset:         8
        .size:           8
        .value_kind:     global_buffer
      - .actual_access:  read_only
        .address_space:  global
        .offset:         16
        .size:           8
        .value_kind:     global_buffer
      - .actual_access:  read_only
        .address_space:  global
        .offset:         24
        .size:           8
        .value_kind:     global_buffer
      - .actual_access:  read_only
        .address_space:  global
        .offset:         32
        .size:           8
        .value_kind:     global_buffer
      - .offset:         40
        .size:           8
        .value_kind:     by_value
      - .address_space:  global
        .offset:         48
        .size:           8
        .value_kind:     global_buffer
      - .address_space:  global
        .offset:         56
        .size:           8
        .value_kind:     global_buffer
      - .address_space:  global
        .offset:         64
        .size:           8
        .value_kind:     global_buffer
      - .address_space:  global
        .offset:         72
        .size:           8
        .value_kind:     global_buffer
      - .offset:         80
        .size:           4
        .value_kind:     by_value
      - .address_space:  global
        .offset:         88
        .size:           8
        .value_kind:     global_buffer
      - .address_space:  global
        .offset:         96
        .size:           8
        .value_kind:     global_buffer
    .group_segment_fixed_size: 28288
    .kernarg_segment_align: 8
    .kernarg_segment_size: 104
    .language:       OpenCL C
    .language_version:
      - 2
      - 0
    .max_flat_workgroup_size: 136
    .name:           bluestein_single_back_len1768_dim1_dp_op_CI_CI
    .private_segment_fixed_size: 652
    .sgpr_count:     72
    .sgpr_spill_count: 0
    .symbol:         bluestein_single_back_len1768_dim1_dp_op_CI_CI.kd
    .uniform_work_group_size: 1
    .uses_dynamic_stack: false
    .vgpr_count:     256
    .vgpr_spill_count: 232
    .wavefront_size: 64
amdhsa.target:   amdgcn-amd-amdhsa--gfx906
amdhsa.version:
  - 1
  - 2
...

	.end_amdgpu_metadata
